;; amdgpu-corpus repo=ROCm/rocFFT kind=compiled arch=gfx906 opt=O3
	.text
	.amdgcn_target "amdgcn-amd-amdhsa--gfx906"
	.amdhsa_code_object_version 6
	.protected	bluestein_single_back_len1600_dim1_dp_op_CI_CI ; -- Begin function bluestein_single_back_len1600_dim1_dp_op_CI_CI
	.globl	bluestein_single_back_len1600_dim1_dp_op_CI_CI
	.p2align	8
	.type	bluestein_single_back_len1600_dim1_dp_op_CI_CI,@function
bluestein_single_back_len1600_dim1_dp_op_CI_CI: ; @bluestein_single_back_len1600_dim1_dp_op_CI_CI
; %bb.0:
	s_load_dwordx4 s[12:15], s[4:5], 0x28
	v_mul_u32_u24_e32 v1, 0x290, v0
	s_mov_b64 s[26:27], s[2:3]
	v_lshrrev_b32_e32 v10, 16, v1
	s_mov_b64 s[24:25], s[0:1]
	v_lshl_add_u32 v4, s6, 1, v10
	v_mov_b32_e32 v5, 0
	s_add_u32 s24, s24, s7
	s_waitcnt lgkmcnt(0)
	v_cmp_gt_u64_e32 vcc, s[12:13], v[4:5]
	s_addc_u32 s25, s25, 0
	s_and_saveexec_b64 s[0:1], vcc
	s_cbranch_execz .LBB0_23
; %bb.1:
	s_load_dwordx4 s[8:11], s[4:5], 0x18
	v_mul_lo_u16_e32 v1, 0x64, v10
	v_sub_u16_e32 v121, v0, v1
	v_mov_b32_e32 v5, v4
	v_lshlrev_b32_e32 v64, 4, v121
	s_waitcnt lgkmcnt(0)
	s_load_dwordx4 s[0:3], s[8:9], 0x0
	buffer_store_dword v5, off, s[24:27], 0 ; 4-byte Folded Spill
	s_nop 0
	buffer_store_dword v6, off, s[24:27], 0 offset:4 ; 4-byte Folded Spill
	v_or_b32_e32 v8, 0x280, v121
	s_movk_i32 s8, 0x1000
	v_mov_b32_e32 v50, 0x1400
	s_waitcnt lgkmcnt(0)
	v_mad_u64_u32 v[0:1], s[6:7], s2, v4, 0
	v_mad_u64_u32 v[2:3], s[6:7], s0, v121, 0
	s_load_dwordx2 s[6:7], s[4:5], 0x0
	v_or_b32_e32 v52, 0x500, v121
	v_mad_u64_u32 v[4:5], s[2:3], s3, v4, v[1:2]
	v_lshlrev_b32_e32 v35, 4, v8
	s_movk_i32 s9, 0x4000
	v_mad_u64_u32 v[5:6], s[2:3], s1, v121, v[3:4]
	v_mov_b32_e32 v1, v4
	v_lshlrev_b64 v[0:1], 4, v[0:1]
	v_mov_b32_e32 v6, s15
	v_mov_b32_e32 v3, v5
	v_add_co_u32_e32 v11, vcc, s14, v0
	v_addc_co_u32_e32 v34, vcc, v6, v1, vcc
	v_lshlrev_b64 v[0:1], 4, v[2:3]
	s_mul_i32 s2, s1, 0xa0
	v_add_co_u32_e32 v0, vcc, v11, v0
	v_addc_co_u32_e32 v1, vcc, v34, v1, vcc
	s_mul_hi_u32 s3, s0, 0xa0
	s_waitcnt lgkmcnt(0)
	v_mov_b32_e32 v2, s7
	v_add_co_u32_e32 v12, vcc, s6, v64
	s_add_i32 s3, s3, s2
	s_mul_i32 s2, s0, 0xa0
	v_addc_co_u32_e32 v13, vcc, 0, v2, vcc
	s_lshl_b64 s[12:13], s[2:3], 4
	global_load_dwordx4 v[14:17], v[0:1], off
	v_mov_b32_e32 v9, s13
	v_add_co_u32_e32 v0, vcc, s12, v0
	v_addc_co_u32_e32 v1, vcc, v1, v9, vcc
	global_load_dwordx4 v[85:88], v64, s[6:7]
	global_load_dwordx4 v[73:76], v64, s[6:7] offset:2560
	v_add_co_u32_e32 v2, vcc, s12, v0
	v_addc_co_u32_e32 v3, vcc, v1, v9, vcc
	global_load_dwordx4 v[18:21], v[0:1], off
	global_load_dwordx4 v[22:25], v[2:3], off
	v_mad_u64_u32 v[4:5], s[2:3], s0, v8, 0
	v_add_co_u32_e32 v0, vcc, s8, v12
	v_mad_u64_u32 v[5:6], s[2:3], s1, v8, v[5:6]
	v_addc_co_u32_e32 v1, vcc, 0, v13, vcc
	v_add_co_u32_e32 v2, vcc, s12, v2
	v_lshlrev_b64 v[4:5], 4, v[4:5]
	v_addc_co_u32_e32 v3, vcc, v3, v9, vcc
	v_add_co_u32_e32 v4, vcc, v11, v4
	v_mad_u64_u32 v[6:7], s[2:3], s0, v50, v[2:3]
	v_addc_co_u32_e32 v5, vcc, v34, v5, vcc
	s_movk_i32 s2, 0x3000
	global_load_dwordx4 v[101:104], v[0:1], off offset:1024
	global_load_dwordx4 v[93:96], v[0:1], off offset:3584
	global_load_dwordx4 v[26:29], v[2:3], off
	global_load_dwordx4 v[30:33], v[4:5], off
	v_add_co_u32_e32 v2, vcc, s2, v12
	s_mul_i32 s8, s1, 0x1400
	v_addc_co_u32_e32 v3, vcc, 0, v13, vcc
	v_add_u32_e32 v7, s8, v7
	v_add_co_u32_e32 v4, vcc, s12, v6
	global_load_dwordx4 v[36:39], v[6:7], off
	v_addc_co_u32_e32 v5, vcc, v7, v9, vcc
	v_mad_u64_u32 v[6:7], s[2:3], s0, v52, 0
	buffer_store_dword v8, off, s[24:27], 0 offset:12 ; 4-byte Folded Spill
	global_load_dwordx4 v[89:92], v35, s[6:7]
	global_load_dwordx4 v[69:72], v[2:3], off offset:512
	global_load_dwordx4 v[40:43], v[4:5], off
	global_load_dwordx4 v[65:68], v[2:3], off offset:3072
	v_add_co_u32_e32 v8, vcc, s12, v4
	v_mov_b32_e32 v4, v7
	v_mad_u64_u32 v[48:49], s[2:3], s1, v52, v[4:5]
	v_addc_co_u32_e32 v9, vcc, v5, v9, vcc
	v_mov_b32_e32 v7, v48
	v_add_co_u32_e32 v4, vcc, s9, v12
	v_lshlrev_b64 v[6:7], 4, v[6:7]
	global_load_dwordx4 v[44:47], v[8:9], off
	v_addc_co_u32_e32 v5, vcc, 0, v13, vcc
	v_mad_u64_u32 v[8:9], s[2:3], s0, v50, v[8:9]
	v_add_co_u32_e32 v6, vcc, v11, v6
	v_addc_co_u32_e32 v7, vcc, v34, v7, vcc
	s_movk_i32 s2, 0x5000
	global_load_dwordx4 v[48:51], v[6:7], off
	v_add_co_u32_e32 v6, vcc, s2, v12
	v_lshlrev_b32_e32 v34, 4, v52
	v_add_u32_e32 v9, s8, v9
	v_addc_co_u32_e32 v7, vcc, 0, v13, vcc
	global_load_dwordx4 v[97:100], v[4:5], off offset:1536
	global_load_dwordx4 v[77:80], v34, s[6:7]
	global_load_dwordx4 v[81:84], v[6:7], off offset:2560
	v_and_b32_e32 v10, 1, v10
	buffer_store_dword v52, off, s[24:27], 0 offset:8 ; 4-byte Folded Spill
	global_load_dwordx4 v[52:55], v[8:9], off
	v_mov_b32_e32 v11, 0x6400
	s_waitcnt vmcnt(20)
	v_mul_f64 v[56:57], v[16:17], v[87:88]
	v_mul_f64 v[58:59], v[14:15], v[87:88]
	v_cmp_eq_u32_e32 vcc, 1, v10
	v_cndmask_b32_e32 v148, 0, v11, vcc
	v_add_u32_e32 v120, v148, v64
	s_waitcnt vmcnt(18)
	v_mul_f64 v[60:61], v[20:21], v[75:76]
	v_mul_f64 v[62:63], v[18:19], v[75:76]
	s_load_dwordx2 s[2:3], s[4:5], 0x38
	v_fma_f64 v[14:15], v[14:15], v[85:86], v[56:57]
	buffer_store_dword v85, off, s[24:27], 0 offset:96 ; 4-byte Folded Spill
	s_nop 0
	buffer_store_dword v86, off, s[24:27], 0 offset:100 ; 4-byte Folded Spill
	buffer_store_dword v87, off, s[24:27], 0 offset:104 ; 4-byte Folded Spill
	buffer_store_dword v88, off, s[24:27], 0 offset:108 ; 4-byte Folded Spill
	v_cmp_gt_u16_e32 vcc, 60, v121
	v_fma_f64 v[18:19], v[18:19], v[73:74], v[60:61]
	buffer_store_dword v73, off, s[24:27], 0 offset:48 ; 4-byte Folded Spill
	s_nop 0
	buffer_store_dword v74, off, s[24:27], 0 offset:52 ; 4-byte Folded Spill
	buffer_store_dword v75, off, s[24:27], 0 offset:56 ; 4-byte Folded Spill
	;; [unrolled: 1-line block ×3, first 2 shown]
	s_load_dwordx4 s[8:11], s[10:11], 0x0
	s_waitcnt vmcnt(24)
	v_mul_f64 v[10:11], v[24:25], v[103:104]
	s_waitcnt vmcnt(18)
	v_mul_f64 v[56:57], v[32:33], v[91:92]
	;; [unrolled: 2-line block ×3, first 2 shown]
	v_fma_f64 v[16:17], v[16:17], v[85:86], -v[58:59]
	v_mul_f64 v[58:59], v[30:31], v[91:92]
	v_fma_f64 v[20:21], v[20:21], v[73:74], -v[62:63]
	ds_write_b128 v120, v[14:17]
	ds_write_b128 v120, v[18:21] offset:2560
	v_mul_f64 v[18:19], v[28:29], v[95:96]
	v_mul_f64 v[16:17], v[22:23], v[103:104]
	;; [unrolled: 1-line block ×3, first 2 shown]
	v_fma_f64 v[14:15], v[22:23], v[101:102], v[10:11]
	buffer_store_dword v101, off, s[24:27], 0 offset:160 ; 4-byte Folded Spill
	s_nop 0
	buffer_store_dword v102, off, s[24:27], 0 offset:164 ; 4-byte Folded Spill
	buffer_store_dword v103, off, s[24:27], 0 offset:168 ; 4-byte Folded Spill
	buffer_store_dword v104, off, s[24:27], 0 offset:172 ; 4-byte Folded Spill
	v_fma_f64 v[22:23], v[30:31], v[89:90], v[56:57]
	v_mul_f64 v[62:63], v[36:37], v[71:72]
	s_waitcnt vmcnt(19)
	v_mul_f64 v[10:11], v[42:43], v[67:68]
	v_fma_f64 v[18:19], v[26:27], v[93:94], v[18:19]
	buffer_store_dword v93, off, s[24:27], 0 offset:128 ; 4-byte Folded Spill
	s_nop 0
	buffer_store_dword v94, off, s[24:27], 0 offset:132 ; 4-byte Folded Spill
	buffer_store_dword v95, off, s[24:27], 0 offset:136 ; 4-byte Folded Spill
	;; [unrolled: 1-line block ×4, first 2 shown]
	s_nop 0
	buffer_store_dword v90, off, s[24:27], 0 offset:116 ; 4-byte Folded Spill
	buffer_store_dword v91, off, s[24:27], 0 offset:120 ; 4-byte Folded Spill
	;; [unrolled: 1-line block ×3, first 2 shown]
	v_fma_f64 v[26:27], v[36:37], v[69:70], v[60:61]
	buffer_store_dword v69, off, s[24:27], 0 offset:32 ; 4-byte Folded Spill
	s_nop 0
	buffer_store_dword v70, off, s[24:27], 0 offset:36 ; 4-byte Folded Spill
	buffer_store_dword v71, off, s[24:27], 0 offset:40 ; 4-byte Folded Spill
	;; [unrolled: 1-line block ×3, first 2 shown]
	s_waitcnt vmcnt(28)
	v_mul_f64 v[36:37], v[46:47], v[99:100]
	s_waitcnt vmcnt(27)
	v_mul_f64 v[56:57], v[50:51], v[79:80]
	;; [unrolled: 2-line block ×3, first 2 shown]
	v_fma_f64 v[30:31], v[40:41], v[65:66], v[10:11]
	v_fma_f64 v[36:37], v[44:45], v[97:98], v[36:37]
	v_fma_f64 v[16:17], v[24:25], v[101:102], -v[16:17]
	v_fma_f64 v[20:21], v[28:29], v[93:94], -v[20:21]
	;; [unrolled: 1-line block ×3, first 2 shown]
	v_mul_f64 v[32:33], v[40:41], v[67:68]
	buffer_store_dword v65, off, s[24:27], 0 offset:16 ; 4-byte Folded Spill
	s_nop 0
	buffer_store_dword v66, off, s[24:27], 0 offset:20 ; 4-byte Folded Spill
	buffer_store_dword v67, off, s[24:27], 0 offset:24 ; 4-byte Folded Spill
	;; [unrolled: 1-line block ×3, first 2 shown]
	v_fma_f64 v[28:29], v[38:39], v[69:70], -v[62:63]
	v_mul_f64 v[38:39], v[44:45], v[99:100]
	buffer_store_dword v97, off, s[24:27], 0 offset:144 ; 4-byte Folded Spill
	s_nop 0
	buffer_store_dword v98, off, s[24:27], 0 offset:148 ; 4-byte Folded Spill
	buffer_store_dword v99, off, s[24:27], 0 offset:152 ; 4-byte Folded Spill
	;; [unrolled: 1-line block ×3, first 2 shown]
	v_mul_f64 v[58:59], v[48:49], v[79:80]
	v_fma_f64 v[40:41], v[48:49], v[77:78], v[56:57]
	buffer_store_dword v77, off, s[24:27], 0 offset:64 ; 4-byte Folded Spill
	s_nop 0
	buffer_store_dword v78, off, s[24:27], 0 offset:68 ; 4-byte Folded Spill
	buffer_store_dword v79, off, s[24:27], 0 offset:72 ; 4-byte Folded Spill
	;; [unrolled: 1-line block ×3, first 2 shown]
	v_mul_f64 v[62:63], v[52:53], v[83:84]
	v_fma_f64 v[44:45], v[52:53], v[81:82], v[60:61]
	buffer_store_dword v81, off, s[24:27], 0 offset:80 ; 4-byte Folded Spill
	s_nop 0
	buffer_store_dword v82, off, s[24:27], 0 offset:84 ; 4-byte Folded Spill
	buffer_store_dword v83, off, s[24:27], 0 offset:88 ; 4-byte Folded Spill
	;; [unrolled: 1-line block ×3, first 2 shown]
	v_fma_f64 v[32:33], v[42:43], v[65:66], -v[32:33]
	v_fma_f64 v[38:39], v[46:47], v[97:98], -v[38:39]
	;; [unrolled: 1-line block ×4, first 2 shown]
	ds_write_b128 v120, v[14:17] offset:5120
	ds_write_b128 v120, v[18:21] offset:7680
	;; [unrolled: 1-line block ×8, first 2 shown]
	s_and_saveexec_b64 s[14:15], vcc
	s_cbranch_execz .LBB0_3
; %bb.2:
	v_mov_b32_e32 v10, 0xffffac40
	v_mad_u64_u32 v[14:15], s[16:17], s0, v10, v[8:9]
	s_mulk_i32 s1, 0xac40
	s_sub_i32 s0, s1, s0
	v_add_u32_e32 v15, s0, v15
	v_mov_b32_e32 v81, s13
	v_add_co_u32_e64 v26, s[0:1], s12, v14
	v_addc_co_u32_e64 v27, s[0:1], v15, v81, s[0:1]
	v_add_co_u32_e64 v30, s[0:1], s12, v26
	v_addc_co_u32_e64 v31, s[0:1], v27, v81, s[0:1]
	;; [unrolled: 2-line block ×3, first 2 shown]
	s_movk_i32 s0, 0x2000
	global_load_dwordx4 v[8:11], v[14:15], off
	v_add_co_u32_e64 v48, s[0:1], s0, v12
	global_load_dwordx4 v[14:17], v[26:27], off
	global_load_dwordx4 v[18:21], v[12:13], off offset:1600
	global_load_dwordx4 v[22:25], v[0:1], off offset:64
	v_addc_co_u32_e64 v49, s[0:1], 0, v13, s[0:1]
	v_add_co_u32_e64 v50, s[0:1], s12, v36
	v_addc_co_u32_e64 v51, s[0:1], v37, v81, s[0:1]
	v_add_co_u32_e64 v60, s[0:1], s12, v50
	v_addc_co_u32_e64 v61, s[0:1], v51, v81, s[0:1]
	global_load_dwordx4 v[26:29], v[30:31], off
	s_waitcnt vmcnt(2)
	v_mul_f64 v[84:85], v[10:11], v[20:21]
	global_load_dwordx4 v[30:33], v[36:37], off
	s_nop 0
	global_load_dwordx4 v[36:39], v[50:51], off
	global_load_dwordx4 v[40:43], v[48:49], off offset:1088
	global_load_dwordx4 v[44:47], v[48:49], off offset:3648
	s_nop 0
	global_load_dwordx4 v[48:51], v[60:61], off
	global_load_dwordx4 v[52:55], v[0:1], off offset:2624
	global_load_dwordx4 v[56:59], v[2:3], off offset:2112
	v_add_co_u32_e64 v60, s[0:1], s12, v60
	v_addc_co_u32_e64 v61, s[0:1], v61, v81, s[0:1]
	v_add_co_u32_e64 v72, s[0:1], s12, v60
	v_addc_co_u32_e64 v73, s[0:1], v61, v81, s[0:1]
	global_load_dwordx4 v[0:3], v[60:61], off
	s_nop 0
	global_load_dwordx4 v[60:63], v[72:73], off
	global_load_dwordx4 v[64:67], v[4:5], off offset:576
	global_load_dwordx4 v[68:71], v[4:5], off offset:3136
	v_add_co_u32_e64 v4, s[0:1], s12, v72
	v_addc_co_u32_e64 v5, s[0:1], v73, v81, s[0:1]
	v_add_co_u32_e64 v80, s[0:1], s12, v4
	v_addc_co_u32_e64 v81, s[0:1], v5, v81, s[0:1]
	s_movk_i32 s0, 0x6000
	global_load_dwordx4 v[72:75], v[4:5], off
	global_load_dwordx4 v[76:79], v[6:7], off offset:1600
	v_add_co_u32_e64 v4, s[0:1], s0, v12
	v_addc_co_u32_e64 v5, s[0:1], 0, v13, s[0:1]
	global_load_dwordx4 v[4:7], v[4:5], off offset:64
	s_nop 0
	global_load_dwordx4 v[80:83], v[80:81], off
	v_mul_f64 v[20:21], v[8:9], v[20:21]
	s_waitcnt vmcnt(16)
	v_mul_f64 v[86:87], v[16:17], v[24:25]
	v_mul_f64 v[24:25], v[14:15], v[24:25]
	v_fma_f64 v[8:9], v[8:9], v[18:19], v[84:85]
	v_fma_f64 v[10:11], v[10:11], v[18:19], -v[20:21]
	v_fma_f64 v[14:15], v[14:15], v[22:23], v[86:87]
	v_fma_f64 v[16:17], v[16:17], v[22:23], -v[24:25]
	ds_write_b128 v120, v[8:11] offset:1600
	ds_write_b128 v120, v[14:17] offset:4160
	s_waitcnt vmcnt(12)
	v_mul_f64 v[90:91], v[32:33], v[42:43]
	s_waitcnt vmcnt(9)
	v_mul_f64 v[88:89], v[28:29], v[54:55]
	v_mul_f64 v[54:55], v[26:27], v[54:55]
	;; [unrolled: 1-line block ×5, first 2 shown]
	s_waitcnt vmcnt(8)
	v_mul_f64 v[94:95], v[50:51], v[58:59]
	v_mul_f64 v[58:59], v[48:49], v[58:59]
	v_fma_f64 v[22:23], v[30:31], v[40:41], v[90:91]
	v_fma_f64 v[18:19], v[26:27], v[52:53], v[88:89]
	v_fma_f64 v[20:21], v[28:29], v[52:53], -v[54:55]
	s_waitcnt vmcnt(5)
	v_mul_f64 v[96:97], v[2:3], v[66:67]
	v_mul_f64 v[66:67], v[0:1], v[66:67]
	s_waitcnt vmcnt(4)
	v_mul_f64 v[98:99], v[62:63], v[70:71]
	v_mul_f64 v[70:71], v[60:61], v[70:71]
	v_fma_f64 v[26:27], v[36:37], v[44:45], v[92:93]
	v_fma_f64 v[28:29], v[38:39], v[44:45], -v[46:47]
	v_fma_f64 v[24:25], v[32:33], v[40:41], -v[42:43]
	v_fma_f64 v[30:31], v[48:49], v[56:57], v[94:95]
	v_fma_f64 v[32:33], v[50:51], v[56:57], -v[58:59]
	v_fma_f64 v[0:1], v[0:1], v[64:65], v[96:97]
	v_fma_f64 v[2:3], v[2:3], v[64:65], -v[66:67]
	s_waitcnt vmcnt(2)
	v_mul_f64 v[84:85], v[74:75], v[78:79]
	v_mul_f64 v[10:11], v[72:73], v[78:79]
	v_fma_f64 v[8:9], v[62:63], v[68:69], -v[70:71]
	s_waitcnt vmcnt(0)
	v_mul_f64 v[36:37], v[82:83], v[6:7]
	v_mul_f64 v[38:39], v[80:81], v[6:7]
	v_fma_f64 v[6:7], v[60:61], v[68:69], v[98:99]
	v_fma_f64 v[14:15], v[72:73], v[76:77], v[84:85]
	v_fma_f64 v[16:17], v[74:75], v[76:77], -v[10:11]
	v_fma_f64 v[36:37], v[80:81], v[4:5], v[36:37]
	v_fma_f64 v[38:39], v[82:83], v[4:5], -v[38:39]
	ds_write_b128 v120, v[18:21] offset:6720
	ds_write_b128 v120, v[22:25] offset:9280
	;; [unrolled: 1-line block ×8, first 2 shown]
.LBB0_3:
	s_or_b64 exec, exec, s[14:15]
	s_waitcnt vmcnt(0) lgkmcnt(0)
	s_barrier
	ds_read_b128 v[104:107], v120
	ds_read_b128 v[84:87], v120 offset:2560
	ds_read_b128 v[88:91], v120 offset:5120
	;; [unrolled: 1-line block ×9, first 2 shown]
	s_load_dwordx2 s[4:5], s[4:5], 0x8
                                        ; implicit-def: $vgpr60_vgpr61
                                        ; implicit-def: $vgpr64_vgpr65
                                        ; implicit-def: $vgpr72_vgpr73
                                        ; implicit-def: $vgpr68_vgpr69
                                        ; implicit-def: $vgpr76_vgpr77
                                        ; implicit-def: $vgpr56_vgpr57
                                        ; implicit-def: $vgpr52_vgpr53
                                        ; implicit-def: $vgpr48_vgpr49
                                        ; implicit-def: $vgpr44_vgpr45
                                        ; implicit-def: $vgpr40_vgpr41
	s_and_saveexec_b64 s[0:1], vcc
	s_cbranch_execz .LBB0_5
; %bb.4:
	ds_read_b128 v[40:43], v120 offset:1600
	ds_read_b128 v[44:47], v120 offset:4160
	ds_read_b128 v[48:51], v120 offset:6720
	ds_read_b128 v[52:55], v120 offset:9280
	ds_read_b128 v[56:59], v120 offset:11840
	ds_read_b128 v[60:63], v120 offset:14400
	ds_read_b128 v[64:67], v120 offset:16960
	ds_read_b128 v[72:75], v120 offset:19520
	ds_read_b128 v[68:71], v120 offset:22080
	ds_read_b128 v[76:79], v120 offset:24640
.LBB0_5:
	s_or_b64 exec, exec, s[0:1]
	s_waitcnt lgkmcnt(0)
	v_add_f64 v[14:15], v[96:97], v[100:101]
	v_add_f64 v[18:19], v[90:91], -v[94:95]
	s_mov_b32 s12, 0x134454ff
	s_mov_b32 s13, 0x3fee6f0e
	v_add_f64 v[16:17], v[104:105], v[88:89]
	v_add_f64 v[20:21], v[98:99], -v[102:103]
	v_add_f64 v[22:23], v[88:89], -v[96:97]
	;; [unrolled: 1-line block ×3, first 2 shown]
	v_fma_f64 v[14:15], v[14:15], -0.5, v[104:105]
	v_add_f64 v[26:27], v[88:89], v[92:93]
	s_mov_b32 s14, 0x4755a5e
	s_mov_b32 s15, 0x3fe2cf23
	v_add_f64 v[16:17], v[16:17], v[96:97]
	s_mov_b32 s19, 0xbfee6f0e
	s_mov_b32 s18, s12
	v_add_f64 v[22:23], v[22:23], v[24:25]
	v_fma_f64 v[28:29], v[18:19], s[12:13], v[14:15]
	v_fma_f64 v[24:25], v[26:27], -0.5, v[104:105]
	v_add_f64 v[30:31], v[96:97], -v[88:89]
	v_add_f64 v[32:33], v[100:101], -v[92:93]
	v_add_f64 v[16:17], v[16:17], v[100:101]
	v_fma_f64 v[14:15], v[18:19], s[18:19], v[14:15]
	v_add_f64 v[104:105], v[106:107], v[90:91]
	v_add_f64 v[88:89], v[88:89], -v[92:93]
	v_fma_f64 v[26:27], v[20:21], s[14:15], v[28:29]
	v_add_f64 v[28:29], v[98:99], v[102:103]
	v_fma_f64 v[37:38], v[20:21], s[18:19], v[24:25]
	s_mov_b32 s21, 0xbfe2cf23
	s_mov_b32 s20, s14
	v_add_f64 v[16:17], v[16:17], v[92:93]
	v_fma_f64 v[14:15], v[20:21], s[20:21], v[14:15]
	v_add_f64 v[30:31], v[30:31], v[32:33]
	v_add_f64 v[32:33], v[90:91], v[94:95]
	v_fma_f64 v[28:29], v[28:29], -0.5, v[106:107]
	v_fma_f64 v[37:38], v[18:19], s[14:15], v[37:38]
	v_fma_f64 v[20:21], v[20:21], s[12:13], v[24:25]
	v_add_f64 v[24:25], v[104:105], v[98:99]
	v_add_f64 v[96:97], v[96:97], -v[100:101]
	v_add_f64 v[100:101], v[90:91], -v[98:99]
	;; [unrolled: 1-line block ×3, first 2 shown]
	s_mov_b32 s16, 0x372fe950
	v_fma_f64 v[92:93], v[88:89], s[18:19], v[28:29]
	v_fma_f64 v[28:29], v[88:89], s[12:13], v[28:29]
	s_mov_b32 s17, 0x3fd3c6ef
	v_fma_f64 v[26:27], v[22:23], s[16:17], v[26:27]
	v_fma_f64 v[14:15], v[22:23], s[16:17], v[14:15]
	v_fma_f64 v[22:23], v[32:33], -0.5, v[106:107]
	v_fma_f64 v[32:33], v[30:31], s[16:17], v[37:38]
	v_fma_f64 v[18:19], v[18:19], s[20:21], v[20:21]
	v_add_f64 v[20:21], v[24:25], v[102:103]
	v_add_f64 v[24:25], v[8:9], v[4:5]
	v_fma_f64 v[37:38], v[96:97], s[20:21], v[92:93]
	v_add_f64 v[92:93], v[100:101], v[104:105]
	v_fma_f64 v[28:29], v[96:97], s[14:15], v[28:29]
	v_fma_f64 v[100:101], v[96:97], s[12:13], v[22:23]
	v_add_f64 v[90:91], v[98:99], -v[90:91]
	v_add_f64 v[98:99], v[102:103], -v[94:95]
	v_add_f64 v[102:103], v[84:85], v[80:81]
	v_fma_f64 v[24:25], v[24:25], -0.5, v[84:85]
	v_add_f64 v[104:105], v[82:83], -v[2:3]
	v_fma_f64 v[18:19], v[30:31], s[16:17], v[18:19]
	v_fma_f64 v[30:31], v[92:93], s[16:17], v[37:38]
	v_fma_f64 v[28:29], v[92:93], s[16:17], v[28:29]
	v_add_f64 v[92:93], v[80:81], v[0:1]
	v_fma_f64 v[22:23], v[96:97], s[18:19], v[22:23]
	v_add_f64 v[96:97], v[10:11], v[6:7]
	v_add_f64 v[20:21], v[20:21], v[94:95]
	v_fma_f64 v[37:38], v[88:89], s[20:21], v[100:101]
	v_add_f64 v[90:91], v[90:91], v[98:99]
	v_add_f64 v[94:95], v[102:103], v[8:9]
	v_fma_f64 v[98:99], v[104:105], s[12:13], v[24:25]
	v_add_f64 v[100:101], v[10:11], -v[6:7]
	v_add_f64 v[102:103], v[80:81], -v[8:9]
	v_add_f64 v[106:107], v[0:1], -v[4:5]
	v_fma_f64 v[84:85], v[92:93], -0.5, v[84:85]
	v_fma_f64 v[22:23], v[88:89], s[14:15], v[22:23]
	v_add_f64 v[88:89], v[82:83], v[2:3]
	v_fma_f64 v[92:93], v[96:97], -0.5, v[86:87]
	v_add_f64 v[96:97], v[80:81], -v[0:1]
	v_add_f64 v[94:95], v[94:95], v[4:5]
	v_fma_f64 v[98:99], v[100:101], s[14:15], v[98:99]
	v_add_f64 v[102:103], v[102:103], v[106:107]
	v_fma_f64 v[24:25], v[104:105], s[18:19], v[24:25]
	v_add_f64 v[108:109], v[8:9], -v[4:5]
	v_fma_f64 v[88:89], v[88:89], -0.5, v[86:87]
	v_add_f64 v[8:9], v[8:9], -v[80:81]
	v_fma_f64 v[80:81], v[96:97], s[18:19], v[92:93]
	v_add_f64 v[110:111], v[82:83], -v[10:11]
	v_add_f64 v[112:113], v[2:3], -v[6:7]
	v_add_f64 v[106:107], v[94:95], v[0:1]
	v_fma_f64 v[94:95], v[102:103], s[16:17], v[98:99]
	v_fma_f64 v[24:25], v[100:101], s[20:21], v[24:25]
	;; [unrolled: 1-line block ×3, first 2 shown]
	v_add_f64 v[0:1], v[4:5], -v[0:1]
	v_fma_f64 v[4:5], v[100:101], s[12:13], v[84:85]
	v_add_f64 v[84:85], v[86:87], v[82:83]
	v_fma_f64 v[86:87], v[108:109], s[12:13], v[88:89]
	v_add_f64 v[82:83], v[10:11], -v[82:83]
	v_add_f64 v[100:101], v[6:7], -v[2:3]
	v_fma_f64 v[80:81], v[108:109], s[20:21], v[80:81]
	v_add_f64 v[110:111], v[110:111], v[112:113]
	v_fma_f64 v[88:89], v[108:109], s[18:19], v[88:89]
	v_add_f64 v[0:1], v[8:9], v[0:1]
	v_add_f64 v[10:11], v[84:85], v[10:11]
	v_fma_f64 v[8:9], v[96:97], s[20:21], v[86:87]
	s_movk_i32 s0, 0x64
	v_add_f64 v[82:83], v[82:83], v[100:101]
	v_add_co_u32_e64 v36, s[0:1], s0, v121
	v_fma_f64 v[86:87], v[110:111], s[16:17], v[80:81]
	v_fma_f64 v[80:81], v[96:97], s[12:13], v[92:93]
	s_mov_b32 s0, 0x9b97f4a8
	s_mov_b32 s1, 0x3fe9e377
	v_fma_f64 v[98:99], v[104:105], s[14:15], v[98:99]
	v_fma_f64 v[4:5], v[104:105], s[20:21], v[4:5]
	;; [unrolled: 1-line block ×3, first 2 shown]
	v_mul_f64 v[88:89], v[94:95], s[0:1]
	v_fma_f64 v[8:9], v[82:83], s[16:17], v[8:9]
	v_fma_f64 v[24:25], v[102:103], s[16:17], v[24:25]
	v_add_f64 v[6:7], v[10:11], v[6:7]
	v_fma_f64 v[10:11], v[108:109], s[14:15], v[80:81]
	v_fma_f64 v[37:38], v[90:91], s[16:17], v[37:38]
	;; [unrolled: 1-line block ×5, first 2 shown]
	v_mul_f64 v[88:89], v[8:9], s[12:13]
	v_fma_f64 v[22:23], v[90:91], s[16:17], v[22:23]
	v_add_f64 v[2:3], v[6:7], v[2:3]
	v_fma_f64 v[6:7], v[110:111], s[16:17], v[10:11]
	v_mul_f64 v[10:11], v[24:25], s[0:1]
	v_mul_f64 v[90:91], v[94:95], s[20:21]
	v_fma_f64 v[82:83], v[82:83], s[16:17], v[84:85]
	v_mul_f64 v[92:93], v[4:5], s[16:17]
	v_fma_f64 v[108:109], v[0:1], s[16:17], v[88:89]
	v_mul_f64 v[0:1], v[0:1], s[18:19]
	v_add_f64 v[80:81], v[16:17], v[106:107]
	v_mul_f64 v[94:95], v[6:7], s[0:1]
	v_fma_f64 v[6:7], v[6:7], s[14:15], -v[10:11]
	v_add_f64 v[10:11], v[64:65], v[56:57]
	v_add_f64 v[84:85], v[26:27], v[102:103]
	v_fma_f64 v[110:111], v[82:83], s[12:13], -v[92:93]
	v_mul_f64 v[82:83], v[82:83], s[16:17]
	v_fma_f64 v[0:1], v[8:9], s[16:17], v[0:1]
	v_add_f64 v[100:101], v[16:17], -v[106:107]
	v_fma_f64 v[8:9], v[24:25], s[20:21], -v[94:95]
	v_add_f64 v[24:25], v[50:51], -v[70:71]
	v_fma_f64 v[10:11], v[10:11], -0.5, v[40:41]
	v_add_f64 v[104:105], v[26:27], -v[102:103]
	v_add_f64 v[26:27], v[58:59], -v[66:67]
	v_add_f64 v[88:89], v[32:33], v[108:109]
	v_fma_f64 v[114:115], v[86:87], s[0:1], v[90:91]
	v_fma_f64 v[4:5], v[4:5], s[18:19], -v[82:83]
	v_add_f64 v[96:97], v[14:15], v[6:7]
	v_add_f64 v[82:83], v[20:21], v[2:3]
	v_fma_f64 v[16:17], v[24:25], s[12:13], v[10:11]
	v_add_f64 v[106:107], v[48:49], -v[56:57]
	v_add_f64 v[118:119], v[68:69], -v[64:65]
	;; [unrolled: 1-line block ×3, first 2 shown]
	v_add_f64 v[32:33], v[68:69], v[48:49]
	v_add_f64 v[116:117], v[14:15], -v[6:7]
	v_fma_f64 v[6:7], v[24:25], s[18:19], v[10:11]
	v_add_f64 v[102:103], v[20:21], -v[2:3]
	v_fma_f64 v[2:3], v[26:27], s[14:15], v[16:17]
	v_add_f64 v[16:17], v[66:67], v[58:59]
	v_add_f64 v[92:93], v[18:19], v[110:111]
	;; [unrolled: 1-line block ×4, first 2 shown]
	v_add_f64 v[112:113], v[18:19], -v[110:111]
	v_add_f64 v[10:11], v[118:119], v[106:107]
	v_add_f64 v[106:107], v[30:31], -v[114:115]
	v_fma_f64 v[14:15], v[32:33], -0.5, v[40:41]
	v_fma_f64 v[6:7], v[26:27], s[20:21], v[6:7]
	v_add_f64 v[114:115], v[22:23], -v[4:5]
	v_add_f64 v[4:5], v[70:71], v[50:51]
	v_fma_f64 v[16:17], v[16:17], -0.5, v[42:43]
	v_add_f64 v[18:19], v[48:49], -v[68:69]
	v_add_f64 v[90:91], v[37:38], v[0:1]
	v_add_f64 v[98:99], v[28:29], v[8:9]
	v_add_f64 v[110:111], v[37:38], -v[0:1]
	v_add_f64 v[118:119], v[28:29], -v[8:9]
	v_fma_f64 v[0:1], v[10:11], s[16:17], v[2:3]
	v_fma_f64 v[8:9], v[26:27], s[18:19], v[14:15]
	;; [unrolled: 1-line block ×3, first 2 shown]
	v_add_f64 v[6:7], v[56:57], -v[48:49]
	v_add_f64 v[10:11], v[64:65], -v[68:69]
	;; [unrolled: 1-line block ×3, first 2 shown]
	v_fma_f64 v[4:5], v[4:5], -0.5, v[42:43]
	v_fma_f64 v[14:15], v[26:27], s[12:13], v[14:15]
	v_fma_f64 v[22:23], v[18:19], s[18:19], v[16:17]
	v_add_f64 v[26:27], v[50:51], -v[58:59]
	v_add_f64 v[28:29], v[70:71], -v[66:67]
	v_fma_f64 v[16:17], v[18:19], s[12:13], v[16:17]
	v_fma_f64 v[8:9], v[24:25], s[14:15], v[8:9]
	v_add_f64 v[6:7], v[10:11], v[6:7]
	v_fma_f64 v[10:11], v[20:21], s[12:13], v[4:5]
	v_add_f64 v[30:31], v[58:59], -v[50:51]
	v_add_f64 v[32:33], v[66:67], -v[70:71]
	v_fma_f64 v[14:15], v[24:25], s[20:21], v[14:15]
	v_fma_f64 v[22:23], v[20:21], s[20:21], v[22:23]
	v_add_f64 v[24:25], v[28:29], v[26:27]
	v_fma_f64 v[16:17], v[20:21], s[14:15], v[16:17]
	v_fma_f64 v[20:21], v[20:21], s[18:19], v[4:5]
	v_add_f64 v[26:27], v[60:61], v[72:73]
	v_fma_f64 v[10:11], v[18:19], s[20:21], v[10:11]
	v_add_f64 v[28:29], v[32:33], v[30:31]
	v_fma_f64 v[4:5], v[6:7], s[16:17], v[8:9]
	v_fma_f64 v[6:7], v[6:7], s[16:17], v[14:15]
	v_fma_f64 v[8:9], v[24:25], s[16:17], v[22:23]
	v_fma_f64 v[14:15], v[24:25], s[16:17], v[16:17]
	v_fma_f64 v[16:17], v[18:19], s[14:15], v[20:21]
	v_fma_f64 v[18:19], v[26:27], -0.5, v[44:45]
	v_add_f64 v[22:23], v[62:63], v[74:75]
	v_fma_f64 v[10:11], v[28:29], s[16:17], v[10:11]
	v_add_f64 v[24:25], v[52:53], -v[60:61]
	v_add_f64 v[26:27], v[76:77], -v[72:73]
	v_add_f64 v[30:31], v[76:77], v[52:53]
	v_add_f64 v[20:21], v[54:55], -v[78:79]
	v_fma_f64 v[16:17], v[28:29], s[16:17], v[16:17]
	v_add_f64 v[28:29], v[78:79], v[54:55]
	v_add_f64 v[37:38], v[62:63], -v[74:75]
	v_fma_f64 v[22:23], v[22:23], -0.5, v[46:47]
	v_add_f64 v[122:123], v[52:53], -v[76:77]
	v_add_f64 v[24:25], v[26:27], v[24:25]
	v_fma_f64 v[26:27], v[30:31], -0.5, v[44:45]
	v_add_f64 v[30:31], v[60:61], -v[72:73]
	v_fma_f64 v[32:33], v[20:21], s[12:13], v[18:19]
	v_fma_f64 v[28:29], v[28:29], -0.5, v[46:47]
	v_fma_f64 v[18:19], v[20:21], s[18:19], v[18:19]
	v_add_f64 v[124:125], v[60:61], -v[52:53]
	v_add_f64 v[126:127], v[72:73], -v[76:77]
	v_fma_f64 v[128:129], v[122:123], s[18:19], v[22:23]
	v_add_f64 v[130:131], v[54:55], -v[62:63]
	v_add_f64 v[132:133], v[78:79], -v[74:75]
	v_fma_f64 v[134:135], v[37:38], s[18:19], v[26:27]
	v_fma_f64 v[136:137], v[30:31], s[12:13], v[28:29]
	v_add_f64 v[138:139], v[62:63], -v[54:55]
	v_add_f64 v[140:141], v[74:75], -v[78:79]
	v_fma_f64 v[26:27], v[37:38], s[12:13], v[26:27]
	v_fma_f64 v[28:29], v[30:31], s[18:19], v[28:29]
	;; [unrolled: 1-line block ×3, first 2 shown]
	v_add_f64 v[124:125], v[126:127], v[124:125]
	v_fma_f64 v[126:127], v[30:31], s[20:21], v[128:129]
	v_add_f64 v[128:129], v[132:133], v[130:131]
	v_fma_f64 v[130:131], v[122:123], s[20:21], v[136:137]
	;; [unrolled: 2-line block ×3, first 2 shown]
	v_fma_f64 v[18:19], v[37:38], s[20:21], v[18:19]
	v_fma_f64 v[32:33], v[37:38], s[14:15], v[32:33]
	;; [unrolled: 1-line block ×13, first 2 shown]
	v_mul_f64 v[22:23], v[30:31], s[14:15]
	v_mul_f64 v[28:29], v[37:38], s[12:13]
	;; [unrolled: 1-line block ×8, first 2 shown]
	v_fma_f64 v[18:19], v[18:19], s[0:1], v[22:23]
	v_fma_f64 v[20:21], v[20:21], s[16:17], v[28:29]
	v_fma_f64 v[22:23], v[24:25], s[12:13], -v[32:33]
	v_fma_f64 v[24:25], v[26:27], s[14:15], -v[124:125]
	v_fma_f64 v[26:27], v[30:31], s[0:1], v[128:129]
	v_fma_f64 v[28:29], v[37:38], s[16:17], v[130:131]
	v_fma_f64 v[30:31], v[122:123], s[18:19], -v[132:133]
	v_fma_f64 v[32:33], v[126:127], s[20:21], -v[134:135]
	v_add_f64 v[168:169], v[0:1], -v[18:19]
	v_add_f64 v[176:177], v[4:5], -v[20:21]
	;; [unrolled: 1-line block ×8, first 2 shown]
	v_mul_lo_u16_e32 v37, 10, v121
	v_lshl_add_u32 v123, v37, 4, v148
	v_mul_u32_u24_e32 v37, 10, v36
	s_barrier
	ds_write_b128 v123, v[80:83]
	ds_write_b128 v123, v[84:87] offset:16
	ds_write_b128 v123, v[88:91] offset:32
	;; [unrolled: 1-line block ×9, first 2 shown]
	buffer_store_dword v37, off, s[24:27], 0 offset:196 ; 4-byte Folded Spill
	s_and_saveexec_b64 s[0:1], vcc
	s_cbranch_execz .LBB0_7
; %bb.6:
	v_add_f64 v[37:38], v[50:51], v[42:43]
	v_add_f64 v[42:43], v[54:55], v[46:47]
	v_add_f64 v[39:40], v[48:49], v[40:41]
	v_add_f64 v[44:45], v[52:53], v[44:45]
	v_add_f64 v[32:33], v[14:15], v[32:33]
	v_add_f64 v[10:11], v[10:11], v[28:29]
	v_add_f64 v[16:17], v[16:17], v[30:31]
	v_add_f64 v[26:27], v[8:9], v[26:27]
	v_add_f64 v[37:38], v[58:59], v[37:38]
	v_add_f64 v[41:42], v[62:63], v[42:43]
	v_add_f64 v[39:40], v[56:57], v[39:40]
	v_add_f64 v[43:44], v[60:61], v[44:45]
	v_add_f64 v[30:31], v[2:3], v[24:25]
	v_add_f64 v[24:25], v[0:1], v[18:19]
	v_add_f64 v[8:9], v[4:5], v[20:21]
	v_mul_u32_u24_e32 v0, 10, v36
	v_add_f64 v[14:15], v[66:67], v[37:38]
	v_add_f64 v[37:38], v[74:75], v[41:42]
	;; [unrolled: 1-line block ×4, first 2 shown]
	v_lshl_add_u32 v18, v0, 4, v148
	ds_write_b128 v18, v[168:171] offset:96
	v_add_f64 v[28:29], v[70:71], v[14:15]
	v_add_f64 v[37:38], v[78:79], v[37:38]
	;; [unrolled: 1-line block ×6, first 2 shown]
	v_add_f64 v[2:3], v[28:29], -v[37:38]
	v_add_f64 v[4:5], v[41:42], v[39:40]
	v_add_f64 v[0:1], v[39:40], -v[41:42]
	ds_write_b128 v18, v[176:179] offset:112
	ds_write_b128 v18, v[180:183] offset:128
	;; [unrolled: 1-line block ×6, first 2 shown]
	ds_write_b128 v18, v[4:7]
	ds_write_b128 v18, v[0:3] offset:80
	ds_write_b128 v18, v[172:175] offset:144
.LBB0_7:
	s_or_b64 exec, exec, s[0:1]
	s_movk_i32 s0, 0xcd
	v_mul_lo_u16_sdwa v0, v121, s0 dst_sel:DWORD dst_unused:UNUSED_PAD src0_sel:BYTE_0 src1_sel:DWORD
	v_lshrrev_b16_e32 v0, 11, v0
	v_mul_lo_u16_e32 v1, 10, v0
	v_sub_u16_e32 v1, v121, v1
	v_mov_b32_e32 v11, s5
	v_and_b32_e32 v1, 0xff, v1
	s_movk_i32 s0, 0xf0
	v_mov_b32_e32 v10, s4
	v_mad_u64_u32 v[10:11], s[0:1], v1, s0, v[10:11]
	s_waitcnt vmcnt(0) lgkmcnt(0)
	s_barrier
	ds_read_b128 v[80:83], v120
	ds_read_b128 v[2:5], v120 offset:1600
	ds_read_b128 v[6:9], v120 offset:3200
	;; [unrolled: 1-line block ×15, first 2 shown]
	global_load_dwordx4 v[43:46], v[10:11], off offset:48
	global_load_dwordx4 v[48:51], v[10:11], off offset:32
	;; [unrolled: 1-line block ×3, first 2 shown]
	global_load_dwordx4 v[72:75], v[10:11], off
	s_mov_b32 s0, 0x667f3bcd
	s_mov_b32 s1, 0xbfe6a09e
	;; [unrolled: 1-line block ×12, first 2 shown]
	v_mul_u32_u24_e32 v0, 0xa0, v0
	v_or_b32_e32 v0, v0, v1
	v_lshl_add_u32 v122, v0, 4, v148
	s_waitcnt vmcnt(0) lgkmcnt(14)
	v_mul_f64 v[41:42], v[4:5], v[74:75]
	v_fma_f64 v[116:117], v[2:3], v[72:73], -v[41:42]
	v_mul_f64 v[2:3], v[2:3], v[74:75]
	v_fma_f64 v[2:3], v[4:5], v[72:73], v[2:3]
	s_waitcnt lgkmcnt(13)
	v_mul_f64 v[4:5], v[8:9], v[58:59]
	v_fma_f64 v[4:5], v[6:7], v[56:57], -v[4:5]
	v_mul_f64 v[6:7], v[6:7], v[58:59]
	v_fma_f64 v[6:7], v[8:9], v[56:57], v[6:7]
	s_waitcnt lgkmcnt(12)
	;; [unrolled: 5-line block ×3, first 2 shown]
	v_mul_f64 v[16:17], v[20:21], v[45:46]
	v_fma_f64 v[16:17], v[18:19], v[43:44], -v[16:17]
	v_mul_f64 v[18:19], v[18:19], v[45:46]
	buffer_store_dword v43, off, s[24:27], 0 offset:176 ; 4-byte Folded Spill
	s_nop 0
	buffer_store_dword v44, off, s[24:27], 0 offset:180 ; 4-byte Folded Spill
	buffer_store_dword v45, off, s[24:27], 0 offset:184 ; 4-byte Folded Spill
	;; [unrolled: 1-line block ×3, first 2 shown]
	v_fma_f64 v[18:19], v[20:21], v[43:44], v[18:19]
	global_load_dwordx4 v[44:47], v[10:11], off offset:112
	global_load_dwordx4 v[52:55], v[10:11], off offset:96
	;; [unrolled: 1-line block ×4, first 2 shown]
	s_waitcnt vmcnt(0) lgkmcnt(10)
	v_mul_f64 v[20:21], v[24:25], v[98:99]
	v_fma_f64 v[20:21], v[22:23], v[96:97], -v[20:21]
	v_mul_f64 v[22:23], v[22:23], v[98:99]
	v_fma_f64 v[22:23], v[24:25], v[96:97], v[22:23]
	s_waitcnt lgkmcnt(9)
	v_mul_f64 v[24:25], v[28:29], v[62:63]
	v_fma_f64 v[24:25], v[26:27], v[60:61], -v[24:25]
	v_mul_f64 v[26:27], v[26:27], v[62:63]
	v_fma_f64 v[26:27], v[28:29], v[60:61], v[26:27]
	s_waitcnt lgkmcnt(8)
	;; [unrolled: 5-line block ×3, first 2 shown]
	v_mul_f64 v[32:33], v[39:40], v[46:47]
	v_fma_f64 v[32:33], v[37:38], v[44:45], -v[32:33]
	v_mul_f64 v[37:38], v[37:38], v[46:47]
	v_add_f64 v[32:33], v[80:81], -v[32:33]
	v_fma_f64 v[37:38], v[39:40], v[44:45], v[37:38]
	global_load_dwordx4 v[64:67], v[10:11], off offset:176
	global_load_dwordx4 v[68:71], v[10:11], off offset:160
	;; [unrolled: 1-line block ×4, first 2 shown]
	v_fma_f64 v[80:81], v[80:81], 2.0, -v[32:33]
	v_add_f64 v[37:38], v[82:83], -v[37:38]
	v_fma_f64 v[82:83], v[82:83], 2.0, -v[37:38]
	s_waitcnt vmcnt(0) lgkmcnt(6)
	v_mul_f64 v[118:119], v[94:95], v[42:43]
	v_fma_f64 v[118:119], v[92:93], v[40:41], -v[118:119]
	v_mul_f64 v[92:93], v[92:93], v[42:43]
	v_add_f64 v[118:119], v[116:117], -v[118:119]
	v_fma_f64 v[128:129], v[94:95], v[40:41], v[92:93]
	s_waitcnt lgkmcnt(5)
	v_mul_f64 v[92:93], v[106:107], v[78:79]
	v_fma_f64 v[116:117], v[116:117], 2.0, -v[118:119]
	v_add_f64 v[128:129], v[2:3], -v[128:129]
	v_fma_f64 v[130:131], v[104:105], v[76:77], -v[92:93]
	v_mul_f64 v[92:93], v[104:105], v[78:79]
	v_fma_f64 v[2:3], v[2:3], 2.0, -v[128:129]
	v_fma_f64 v[104:105], v[106:107], v[76:77], v[92:93]
	s_waitcnt lgkmcnt(4)
	v_mul_f64 v[92:93], v[110:111], v[70:71]
	v_add_f64 v[104:105], v[6:7], -v[104:105]
	v_fma_f64 v[106:107], v[108:109], v[68:69], -v[92:93]
	v_mul_f64 v[92:93], v[108:109], v[70:71]
	v_fma_f64 v[6:7], v[6:7], 2.0, -v[104:105]
	v_add_f64 v[106:107], v[8:9], -v[106:107]
	v_fma_f64 v[132:133], v[110:111], v[68:69], v[92:93]
	s_waitcnt lgkmcnt(3)
	v_mul_f64 v[92:93], v[114:115], v[66:67]
	v_fma_f64 v[8:9], v[8:9], 2.0, -v[106:107]
	v_fma_f64 v[134:135], v[112:113], v[64:65], -v[92:93]
	v_mul_f64 v[92:93], v[112:113], v[66:67]
	v_fma_f64 v[112:113], v[114:115], v[64:65], v[92:93]
	global_load_dwordx4 v[92:95], v[10:11], off offset:224
	global_load_dwordx4 v[108:111], v[10:11], off offset:208
	;; [unrolled: 1-line block ×3, first 2 shown]
	v_add_f64 v[114:115], v[4:5], -v[130:131]
	v_add_f64 v[130:131], v[14:15], -v[132:133]
	s_waitcnt vmcnt(0) lgkmcnt(0)
	s_barrier
	buffer_store_dword v148, off, s[24:27], 0 offset:192 ; 4-byte Folded Spill
	v_add_f64 v[112:113], v[18:19], -v[112:113]
	v_fma_f64 v[4:5], v[4:5], 2.0, -v[114:115]
	v_fma_f64 v[14:15], v[14:15], 2.0, -v[130:131]
	;; [unrolled: 1-line block ×3, first 2 shown]
	v_add_f64 v[112:113], v[32:33], -v[112:113]
	v_add_f64 v[18:19], v[82:83], -v[18:19]
	v_fma_f64 v[32:33], v[32:33], 2.0, -v[112:113]
	v_fma_f64 v[82:83], v[82:83], 2.0, -v[18:19]
	v_mul_f64 v[10:11], v[102:103], v[126:127]
	v_fma_f64 v[10:11], v[100:101], v[124:125], -v[10:11]
	v_mul_f64 v[100:101], v[100:101], v[126:127]
	v_add_f64 v[10:11], v[20:21], -v[10:11]
	v_fma_f64 v[100:101], v[102:103], v[124:125], v[100:101]
	v_mul_f64 v[102:103], v[90:91], v[110:111]
	v_fma_f64 v[20:21], v[20:21], 2.0, -v[10:11]
	v_add_f64 v[100:101], v[22:23], -v[100:101]
	v_fma_f64 v[102:103], v[88:89], v[108:109], -v[102:103]
	v_mul_f64 v[88:89], v[88:89], v[110:111]
	v_add_f64 v[10:11], v[128:129], v[10:11]
	v_add_f64 v[20:21], v[116:117], -v[20:21]
	v_fma_f64 v[22:23], v[22:23], 2.0, -v[100:101]
	v_add_f64 v[102:103], v[24:25], -v[102:103]
	v_fma_f64 v[88:89], v[90:91], v[108:109], v[88:89]
	v_mul_f64 v[90:91], v[86:87], v[94:95]
	v_add_f64 v[100:101], v[118:119], -v[100:101]
	v_fma_f64 v[128:129], v[128:129], 2.0, -v[10:11]
	v_fma_f64 v[116:117], v[116:117], 2.0, -v[20:21]
	v_add_f64 v[22:23], v[2:3], -v[22:23]
	v_fma_f64 v[24:25], v[24:25], 2.0, -v[102:103]
	v_add_f64 v[88:89], v[26:27], -v[88:89]
	v_fma_f64 v[90:91], v[84:85], v[92:93], -v[90:91]
	v_mul_f64 v[84:85], v[84:85], v[94:95]
	v_add_f64 v[102:103], v[104:105], v[102:103]
	v_fma_f64 v[118:119], v[118:119], 2.0, -v[100:101]
	v_fma_f64 v[2:3], v[2:3], 2.0, -v[22:23]
	v_add_f64 v[24:25], v[4:5], -v[24:25]
	v_fma_f64 v[26:27], v[26:27], 2.0, -v[88:89]
	v_add_f64 v[88:89], v[114:115], -v[88:89]
	v_fma_f64 v[84:85], v[86:87], v[92:93], v[84:85]
	v_add_f64 v[86:87], v[16:17], -v[134:135]
	v_add_f64 v[90:91], v[28:29], -v[90:91]
	v_fma_f64 v[104:105], v[104:105], 2.0, -v[102:103]
	v_fma_f64 v[4:5], v[4:5], 2.0, -v[24:25]
	v_add_f64 v[26:27], v[6:7], -v[26:27]
	v_fma_f64 v[114:115], v[114:115], 2.0, -v[88:89]
	v_add_f64 v[84:85], v[30:31], -v[84:85]
	v_fma_f64 v[16:17], v[16:17], 2.0, -v[86:87]
	v_add_f64 v[86:87], v[37:38], v[86:87]
	v_fma_f64 v[28:29], v[28:29], 2.0, -v[90:91]
	v_add_f64 v[90:91], v[130:131], v[90:91]
	v_add_f64 v[138:139], v[18:19], v[24:25]
	v_fma_f64 v[6:7], v[6:7], 2.0, -v[26:27]
	v_fma_f64 v[30:31], v[30:31], 2.0, -v[84:85]
	v_add_f64 v[16:17], v[80:81], -v[16:17]
	v_fma_f64 v[37:38], v[37:38], 2.0, -v[86:87]
	v_add_f64 v[28:29], v[8:9], -v[28:29]
	v_add_f64 v[84:85], v[106:107], -v[84:85]
	v_fma_f64 v[130:131], v[130:131], 2.0, -v[90:91]
	v_add_f64 v[134:135], v[82:83], -v[6:7]
	v_add_f64 v[30:31], v[14:15], -v[30:31]
	v_fma_f64 v[80:81], v[80:81], 2.0, -v[16:17]
	v_fma_f64 v[8:9], v[8:9], 2.0, -v[28:29]
	v_fma_f64 v[106:107], v[106:107], 2.0, -v[84:85]
	v_fma_f64 v[14:15], v[14:15], 2.0, -v[30:31]
	v_add_f64 v[132:133], v[80:81], -v[4:5]
	v_fma_f64 v[4:5], v[114:115], s[0:1], v[32:33]
	v_add_f64 v[144:145], v[20:21], -v[30:31]
	v_fma_f64 v[6:7], v[80:81], 2.0, -v[132:133]
	v_fma_f64 v[80:81], v[82:83], 2.0, -v[134:135]
	v_fma_f64 v[82:83], v[104:105], s[0:1], v[37:38]
	v_fma_f64 v[136:137], v[104:105], s[0:1], v[4:5]
	;; [unrolled: 1-line block ×3, first 2 shown]
	v_add_f64 v[104:105], v[2:3], -v[14:15]
	v_fma_f64 v[14:15], v[130:131], s[0:1], v[128:129]
	v_fma_f64 v[82:83], v[114:115], s[12:13], v[82:83]
	v_add_f64 v[114:115], v[16:17], -v[26:27]
	v_fma_f64 v[140:141], v[102:103], s[0:1], v[4:5]
	v_fma_f64 v[32:33], v[32:33], 2.0, -v[136:137]
	v_fma_f64 v[26:27], v[18:19], 2.0, -v[138:139]
	v_fma_f64 v[18:19], v[90:91], s[12:13], v[10:11]
	v_fma_f64 v[37:38], v[37:38], 2.0, -v[82:83]
	v_fma_f64 v[24:25], v[16:17], 2.0, -v[114:115]
	v_fma_f64 v[16:17], v[102:103], s[12:13], v[86:87]
	v_fma_f64 v[146:147], v[84:85], s[12:13], v[18:19]
	;; [unrolled: 1-line block ×3, first 2 shown]
	v_fma_f64 v[88:89], v[112:113], 2.0, -v[140:141]
	v_add_f64 v[112:113], v[116:117], -v[8:9]
	v_fma_f64 v[8:9], v[2:3], 2.0, -v[104:105]
	v_fma_f64 v[2:3], v[106:107], s[0:1], v[118:119]
	v_fma_f64 v[10:11], v[10:11], 2.0, -v[146:147]
	v_add_f64 v[104:105], v[132:133], -v[104:105]
	v_fma_f64 v[86:87], v[86:87], 2.0, -v[142:143]
	v_fma_f64 v[4:5], v[116:117], 2.0, -v[112:113]
	v_fma_f64 v[116:117], v[106:107], s[12:13], v[14:15]
	v_fma_f64 v[130:131], v[130:131], s[0:1], v[2:3]
	;; [unrolled: 1-line block ×3, first 2 shown]
	v_add_f64 v[106:107], v[134:135], v[112:113]
	v_fma_f64 v[14:15], v[128:129], 2.0, -v[116:117]
	v_fma_f64 v[16:17], v[118:119], 2.0, -v[130:131]
	v_add_f64 v[128:129], v[22:23], v[28:29]
	v_fma_f64 v[28:29], v[20:21], 2.0, -v[144:145]
	v_fma_f64 v[90:91], v[90:91], s[0:1], v[2:3]
	v_add_f64 v[2:3], v[6:7], -v[4:5]
	v_add_f64 v[4:5], v[80:81], -v[8:9]
	v_fma_f64 v[20:21], v[14:15], s[18:19], v[37:38]
	v_fma_f64 v[18:19], v[16:17], s[18:19], v[32:33]
	v_fma_f64 v[22:23], v[22:23], 2.0, -v[128:129]
	v_fma_f64 v[30:31], v[100:101], 2.0, -v[90:91]
	;; [unrolled: 1-line block ×4, first 2 shown]
	v_fma_f64 v[16:17], v[16:17], s[14:15], v[20:21]
	v_fma_f64 v[14:15], v[14:15], s[16:17], v[18:19]
	v_fma_f64 v[20:21], v[37:38], 2.0, -v[16:17]
	v_fma_f64 v[18:19], v[32:33], 2.0, -v[14:15]
	v_fma_f64 v[32:33], v[28:29], s[0:1], v[24:25]
	v_fma_f64 v[37:38], v[22:23], s[0:1], v[26:27]
	;; [unrolled: 1-line block ×6, first 2 shown]
	v_fma_f64 v[32:33], v[134:135], 2.0, -v[106:107]
	v_fma_f64 v[22:23], v[24:25], 2.0, -v[184:185]
	;; [unrolled: 1-line block ×3, first 2 shown]
	v_fma_f64 v[26:27], v[30:31], s[16:17], v[88:89]
	v_fma_f64 v[118:119], v[130:131], s[20:21], v[37:38]
	;; [unrolled: 1-line block ×4, first 2 shown]
	v_fma_f64 v[30:31], v[132:133], 2.0, -v[104:105]
	v_fma_f64 v[100:101], v[10:11], s[18:19], v[26:27]
	v_fma_f64 v[10:11], v[130:131], s[14:15], v[136:137]
	;; [unrolled: 1-line block ×4, first 2 shown]
	v_fma_f64 v[28:29], v[86:87], 2.0, -v[102:103]
	v_fma_f64 v[82:83], v[82:83], 2.0, -v[118:119]
	;; [unrolled: 1-line block ×3, first 2 shown]
	v_fma_f64 v[116:117], v[116:117], s[18:19], v[10:11]
	v_fma_f64 v[10:11], v[144:145], s[12:13], v[114:115]
	;; [unrolled: 1-line block ×3, first 2 shown]
	v_fma_f64 v[86:87], v[138:139], 2.0, -v[130:131]
	v_fma_f64 v[80:81], v[136:137], 2.0, -v[116:117]
	v_fma_f64 v[128:129], v[128:129], s[0:1], v[10:11]
	v_fma_f64 v[10:11], v[90:91], s[20:21], v[140:141]
	v_fma_f64 v[90:91], v[142:143], 2.0, -v[194:195]
	v_fma_f64 v[84:85], v[114:115], 2.0, -v[128:129]
	v_fma_f64 v[192:193], v[146:147], s[16:17], v[10:11]
	v_fma_f64 v[88:89], v[140:141], 2.0, -v[192:193]
	ds_write_b128 v122, v[6:9]
	ds_write_b128 v122, v[18:21] offset:160
	ds_write_b128 v122, v[22:25] offset:320
	;; [unrolled: 1-line block ×15, first 2 shown]
	s_waitcnt vmcnt(0) lgkmcnt(0)
	s_barrier
	ds_read_b128 v[188:191], v120
	ds_read_b128 v[140:143], v120 offset:2560
	ds_read_b128 v[136:139], v120 offset:5120
	;; [unrolled: 1-line block ×9, first 2 shown]
	s_and_saveexec_b64 s[0:1], vcc
	s_cbranch_execz .LBB0_9
; %bb.8:
	ds_read_b128 v[184:187], v120 offset:1600
	ds_read_b128 v[100:103], v120 offset:4160
	;; [unrolled: 1-line block ×10, first 2 shown]
.LBB0_9:
	s_or_b64 exec, exec, s[0:1]
	v_mov_b32_e32 v15, s5
	s_movk_i32 s0, 0x90
	v_mov_b32_e32 v14, s4
	v_mad_u64_u32 v[14:15], s[0:1], v121, s0, v[14:15]
	s_mov_b32 s12, 0x134454ff
	global_load_dwordx4 v[132:135], v[14:15], off offset:2448
	global_load_dwordx4 v[152:155], v[14:15], off offset:2432
	;; [unrolled: 1-line block ×4, first 2 shown]
	s_mov_b32 s13, 0x3fee6f0e
	s_mov_b32 s15, 0xbfee6f0e
	;; [unrolled: 1-line block ×7, first 2 shown]
	s_waitcnt vmcnt(0) lgkmcnt(8)
	v_mul_f64 v[16:17], v[142:143], v[166:167]
	v_fma_f64 v[224:225], v[140:141], v[164:165], -v[16:17]
	v_mul_f64 v[16:17], v[140:141], v[166:167]
	v_fma_f64 v[208:209], v[142:143], v[164:165], v[16:17]
	s_waitcnt lgkmcnt(7)
	v_mul_f64 v[16:17], v[138:139], v[162:163]
	v_fma_f64 v[238:239], v[136:137], v[160:161], -v[16:17]
	v_mul_f64 v[16:17], v[136:137], v[162:163]
	v_fma_f64 v[226:227], v[138:139], v[160:161], v[16:17]
	global_load_dwordx4 v[144:147], v[14:15], off offset:2512
	global_load_dwordx4 v[136:139], v[14:15], off offset:2496
	;; [unrolled: 1-line block ×4, first 2 shown]
	s_waitcnt lgkmcnt(6)
	v_mul_f64 v[16:17], v[114:115], v[154:155]
	global_load_dwordx4 v[148:151], v[14:15], off offset:2528
	v_fma_f64 v[216:217], v[112:113], v[152:153], -v[16:17]
	v_mul_f64 v[16:17], v[112:113], v[154:155]
	v_fma_f64 v[206:207], v[114:115], v[152:153], v[16:17]
	s_waitcnt lgkmcnt(5)
	v_mul_f64 v[16:17], v[90:91], v[134:135]
	v_fma_f64 v[234:235], v[88:89], v[132:133], -v[16:17]
	v_mul_f64 v[16:17], v[88:89], v[134:135]
	v_add_f64 v[22:23], v[238:239], -v[234:235]
	v_fma_f64 v[228:229], v[90:91], v[132:133], v[16:17]
	v_add_f64 v[28:29], v[226:227], -v[228:229]
	v_add_f64 v[32:33], v[228:229], -v[226:227]
	s_waitcnt vmcnt(1) lgkmcnt(4)
	v_mul_f64 v[16:17], v[86:87], v[158:159]
	v_fma_f64 v[218:219], v[84:85], v[156:157], -v[16:17]
	v_mul_f64 v[16:17], v[84:85], v[158:159]
	v_add_f64 v[84:85], v[218:219], -v[216:217]
	v_fma_f64 v[210:211], v[86:87], v[156:157], v[16:17]
	s_waitcnt lgkmcnt(3)
	v_mul_f64 v[16:17], v[82:83], v[142:143]
	v_fma_f64 v[236:237], v[80:81], v[140:141], -v[16:17]
	v_mul_f64 v[16:17], v[80:81], v[142:143]
	v_add_f64 v[80:81], v[216:217], -v[218:219]
	v_add_f64 v[26:27], v[234:235], -v[236:237]
	v_fma_f64 v[230:231], v[82:83], v[140:141], v[16:17]
	s_waitcnt lgkmcnt(2)
	v_mul_f64 v[16:17], v[10:11], v[138:139]
	v_add_f64 v[20:21], v[228:229], -v[230:231]
	v_fma_f64 v[220:221], v[8:9], v[136:137], -v[16:17]
	v_mul_f64 v[8:9], v[8:9], v[138:139]
	v_fma_f64 v[212:213], v[10:11], v[136:137], v[8:9]
	s_waitcnt lgkmcnt(1)
	v_mul_f64 v[8:9], v[6:7], v[146:147]
	v_add_f64 v[38:39], v[210:211], -v[212:213]
	v_fma_f64 v[240:241], v[4:5], v[144:145], -v[8:9]
	v_mul_f64 v[4:5], v[4:5], v[146:147]
	v_add_f64 v[24:25], v[240:241], -v[236:237]
	v_fma_f64 v[232:233], v[6:7], v[144:145], v[4:5]
	s_waitcnt vmcnt(0) lgkmcnt(0)
	v_mul_f64 v[4:5], v[2:3], v[150:151]
	v_add_f64 v[22:23], v[22:23], v[24:25]
	v_add_f64 v[24:25], v[236:237], -v[240:241]
	v_fma_f64 v[222:223], v[0:1], v[148:149], -v[4:5]
	v_mul_f64 v[0:1], v[0:1], v[150:151]
	v_add_f64 v[30:31], v[232:233], -v[230:231]
	v_add_f64 v[82:83], v[222:223], -v[220:221]
	v_fma_f64 v[214:215], v[2:3], v[148:149], v[0:1]
	v_subrev_u32_e32 v0, 60, v121
	v_cndmask_b32_e32 v0, v0, v36, vcc
	v_mul_hi_i32_i24_e32 v1, 0x90, v0
	v_mul_i32_i24_e32 v0, 0x90, v0
	v_add_co_u32_e64 v14, s[0:1], s4, v0
	v_mov_b32_e32 v0, s5
	v_addc_co_u32_e64 v15, s[0:1], v0, v1, s[0:1]
	global_load_dwordx4 v[16:19], v[14:15], off offset:2448
	global_load_dwordx4 v[6:9], v[14:15], off offset:2432
	;; [unrolled: 1-line block ×4, first 2 shown]
	s_mov_b32 s1, 0xbfe2cf23
	s_mov_b32 s0, s16
	s_mov_b32 s4, 0x372fe950
	s_mov_b32 s5, 0x3fd3c6ef
	v_add_f64 v[28:29], v[28:29], v[30:31]
	v_add_f64 v[36:37], v[230:231], -v[232:233]
	v_add_f64 v[80:81], v[80:81], v[82:83]
	v_add_f64 v[86:87], v[220:221], -v[222:223]
	v_add_f64 v[32:33], v[32:33], v[36:37]
	v_add_f64 v[84:85], v[84:85], v[86:87]
	s_waitcnt vmcnt(0)
	v_mul_f64 v[0:1], v[102:103], v[90:91]
	v_fma_f64 v[10:11], v[100:101], v[88:89], -v[0:1]
	v_mul_f64 v[0:1], v[100:101], v[90:91]
	v_fma_f64 v[2:3], v[102:103], v[88:89], v[0:1]
	v_mul_f64 v[0:1], v[106:107], v[114:115]
	v_fma_f64 v[202:203], v[104:105], v[112:113], -v[0:1]
	v_mul_f64 v[0:1], v[104:105], v[114:115]
	v_fma_f64 v[198:199], v[106:107], v[112:113], v[0:1]
	v_mul_f64 v[0:1], v[118:119], v[8:9]
	v_fma_f64 v[4:5], v[116:117], v[6:7], -v[0:1]
	v_mul_f64 v[0:1], v[116:117], v[8:9]
	buffer_store_dword v6, off, s[24:27], 0 offset:216 ; 4-byte Folded Spill
	s_nop 0
	buffer_store_dword v7, off, s[24:27], 0 offset:220 ; 4-byte Folded Spill
	buffer_store_dword v8, off, s[24:27], 0 offset:224 ; 4-byte Folded Spill
	;; [unrolled: 1-line block ×3, first 2 shown]
	v_fma_f64 v[0:1], v[118:119], v[6:7], v[0:1]
	v_mul_f64 v[6:7], v[130:131], v[18:19]
	v_fma_f64 v[204:205], v[128:129], v[16:17], -v[6:7]
	v_mul_f64 v[6:7], v[128:129], v[18:19]
	buffer_store_dword v16, off, s[24:27], 0 offset:200 ; 4-byte Folded Spill
	s_nop 0
	buffer_store_dword v17, off, s[24:27], 0 offset:204 ; 4-byte Folded Spill
	buffer_store_dword v18, off, s[24:27], 0 offset:208 ; 4-byte Folded Spill
	buffer_store_dword v19, off, s[24:27], 0 offset:212 ; 4-byte Folded Spill
	v_fma_f64 v[200:201], v[130:131], v[16:17], v[6:7]
	global_load_dwordx4 v[116:119], v[14:15], off offset:2512
	global_load_dwordx4 v[104:107], v[14:15], off offset:2496
	;; [unrolled: 1-line block ×4, first 2 shown]
	s_waitcnt vmcnt(3)
	v_mul_f64 v[16:17], v[182:183], v[118:119]
	s_waitcnt vmcnt(1)
	v_mul_f64 v[8:9], v[170:171], v[102:103]
	;; [unrolled: 2-line block ×3, first 2 shown]
	v_fma_f64 v[254:255], v[180:181], v[116:117], -v[16:17]
	v_mul_f64 v[16:17], v[180:181], v[118:119]
	v_fma_f64 v[252:253], v[168:169], v[100:101], -v[8:9]
	v_fma_f64 v[196:197], v[192:193], v[128:129], -v[6:7]
	v_mul_f64 v[6:7], v[192:193], v[130:131]
	v_mul_f64 v[8:9], v[168:169], v[102:103]
	v_fma_f64 v[6:7], v[194:195], v[128:129], v[6:7]
	v_fma_f64 v[194:195], v[170:171], v[100:101], v[8:9]
	global_load_dwordx4 v[168:171], v[14:15], off offset:2528
	v_mul_f64 v[8:9], v[178:179], v[106:107]
	v_fma_f64 v[192:193], v[176:177], v[104:105], -v[8:9]
	v_mul_f64 v[8:9], v[176:177], v[106:107]
	v_fma_f64 v[8:9], v[178:179], v[104:105], v[8:9]
	v_fma_f64 v[178:179], v[182:183], v[116:117], v[16:17]
	v_add_f64 v[16:17], v[226:227], -v[232:233]
	s_waitcnt vmcnt(0)
	v_mul_f64 v[14:15], v[174:175], v[170:171]
	v_fma_f64 v[176:177], v[172:173], v[168:169], -v[14:15]
	v_mul_f64 v[14:15], v[172:173], v[170:171]
	v_fma_f64 v[172:173], v[174:175], v[168:169], v[14:15]
	v_add_f64 v[14:15], v[188:189], v[238:239]
	v_add_f64 v[14:15], v[14:15], v[234:235]
	;; [unrolled: 1-line block ×5, first 2 shown]
	v_fma_f64 v[14:15], v[14:15], -0.5, v[188:189]
	v_fma_f64 v[18:19], v[16:17], s[12:13], v[14:15]
	v_fma_f64 v[14:15], v[16:17], s[14:15], v[14:15]
	;; [unrolled: 1-line block ×6, first 2 shown]
	v_add_f64 v[14:15], v[238:239], v[240:241]
	v_add_f64 v[22:23], v[234:235], -v[238:239]
	v_fma_f64 v[14:15], v[14:15], -0.5, v[188:189]
	v_add_f64 v[22:23], v[22:23], v[24:25]
	v_add_f64 v[188:189], v[218:219], -v[220:221]
	v_fma_f64 v[18:19], v[20:21], s[14:15], v[14:15]
	v_fma_f64 v[14:15], v[20:21], s[12:13], v[14:15]
	v_add_f64 v[20:21], v[228:229], v[230:231]
	v_fma_f64 v[18:19], v[16:17], s[16:17], v[18:19]
	v_fma_f64 v[14:15], v[16:17], s[0:1], v[14:15]
	v_fma_f64 v[20:21], v[20:21], -0.5, v[190:191]
	v_add_f64 v[16:17], v[190:191], v[226:227]
	v_fma_f64 v[18:19], v[22:23], s[4:5], v[18:19]
	v_fma_f64 v[14:15], v[22:23], s[4:5], v[14:15]
	v_add_f64 v[22:23], v[238:239], -v[240:241]
	v_add_f64 v[16:17], v[16:17], v[228:229]
	v_fma_f64 v[24:25], v[22:23], s[14:15], v[20:21]
	v_fma_f64 v[20:21], v[22:23], s[12:13], v[20:21]
	v_add_f64 v[16:17], v[16:17], v[230:231]
	v_fma_f64 v[24:25], v[26:27], s[0:1], v[24:25]
	v_fma_f64 v[20:21], v[26:27], s[16:17], v[20:21]
	;; [unrolled: 3-line block ×3, first 2 shown]
	v_add_f64 v[28:29], v[226:227], v[232:233]
	v_fma_f64 v[28:29], v[28:29], -0.5, v[190:191]
	v_add_f64 v[190:191], v[206:207], -v[210:211]
	v_fma_f64 v[30:31], v[26:27], s[12:13], v[28:29]
	v_fma_f64 v[26:27], v[26:27], s[14:15], v[28:29]
	v_add_f64 v[28:29], v[218:219], v[220:221]
	v_fma_f64 v[30:31], v[22:23], s[0:1], v[30:31]
	v_fma_f64 v[22:23], v[22:23], s[16:17], v[26:27]
	v_fma_f64 v[28:29], v[28:29], -0.5, v[224:225]
	v_add_f64 v[26:27], v[224:225], v[216:217]
	v_fma_f64 v[30:31], v[32:33], s[4:5], v[30:31]
	v_fma_f64 v[22:23], v[32:33], s[4:5], v[22:23]
	v_add_f64 v[32:33], v[206:207], -v[214:215]
	v_add_f64 v[26:27], v[26:27], v[218:219]
	v_fma_f64 v[36:37], v[32:33], s[12:13], v[28:29]
	v_fma_f64 v[28:29], v[32:33], s[14:15], v[28:29]
	v_add_f64 v[26:27], v[26:27], v[220:221]
	v_fma_f64 v[36:37], v[38:39], s[16:17], v[36:37]
	v_fma_f64 v[28:29], v[38:39], s[0:1], v[28:29]
	;; [unrolled: 3-line block ×3, first 2 shown]
	v_add_f64 v[80:81], v[216:217], v[222:223]
	v_add_f64 v[248:249], v[174:175], -v[26:27]
	v_fma_f64 v[80:81], v[80:81], -0.5, v[224:225]
	v_fma_f64 v[82:83], v[38:39], s[14:15], v[80:81]
	v_fma_f64 v[38:39], v[38:39], s[12:13], v[80:81]
	v_add_f64 v[80:81], v[210:211], v[212:213]
	v_fma_f64 v[82:83], v[32:33], s[16:17], v[82:83]
	v_fma_f64 v[32:33], v[32:33], s[0:1], v[38:39]
	v_fma_f64 v[80:81], v[80:81], -0.5, v[208:209]
	v_add_f64 v[38:39], v[208:209], v[206:207]
	v_fma_f64 v[82:83], v[84:85], s[4:5], v[82:83]
	v_fma_f64 v[32:33], v[84:85], s[4:5], v[32:33]
	v_add_f64 v[84:85], v[216:217], -v[222:223]
	v_add_f64 v[216:217], v[214:215], -v[212:213]
	v_add_f64 v[38:39], v[38:39], v[210:211]
	v_fma_f64 v[86:87], v[84:85], s[14:15], v[80:81]
	v_fma_f64 v[80:81], v[84:85], s[12:13], v[80:81]
	v_add_f64 v[190:191], v[190:191], v[216:217]
	v_add_f64 v[38:39], v[38:39], v[212:213]
	v_fma_f64 v[86:87], v[188:189], s[0:1], v[86:87]
	v_fma_f64 v[80:81], v[188:189], s[16:17], v[80:81]
	v_add_f64 v[38:39], v[38:39], v[214:215]
	v_fma_f64 v[86:87], v[190:191], s[4:5], v[86:87]
	v_fma_f64 v[80:81], v[190:191], s[4:5], v[80:81]
	v_add_f64 v[190:191], v[206:207], v[214:215]
	v_add_f64 v[206:207], v[210:211], -v[206:207]
	v_add_f64 v[210:211], v[212:213], -v[214:215]
	v_add_f64 v[214:215], v[16:17], v[38:39]
	v_add_f64 v[250:251], v[16:17], -v[38:39]
	v_add_f64 v[16:17], v[204:205], v[252:253]
	v_add_f64 v[212:213], v[174:175], v[26:27]
	v_add_f64 v[26:27], v[254:255], -v[252:253]
	v_fma_f64 v[190:191], v[190:191], -0.5, v[208:209]
	v_add_f64 v[38:39], v[178:179], -v[194:195]
	v_add_f64 v[206:207], v[206:207], v[210:211]
	v_mul_f64 v[210:211], v[28:29], s[18:19]
	v_add_f64 v[174:175], v[176:177], -v[192:193]
	v_fma_f64 v[208:209], v[188:189], s[12:13], v[190:191]
	v_fma_f64 v[188:189], v[188:189], s[14:15], v[190:191]
	v_fma_f64 v[210:211], v[80:81], s[16:17], -v[210:211]
	v_mul_f64 v[80:81], v[80:81], s[18:19]
	v_fma_f64 v[208:209], v[84:85], s[0:1], v[208:209]
	v_fma_f64 v[84:85], v[84:85], s[16:17], v[188:189]
	v_mul_f64 v[188:189], v[86:87], s[16:17]
	v_add_f64 v[228:229], v[182:183], v[210:211]
	v_fma_f64 v[28:29], v[28:29], s[0:1], -v[80:81]
	v_add_f64 v[80:81], v[200:201], -v[198:199]
	v_add_f64 v[232:233], v[182:183], -v[210:211]
	v_fma_f64 v[208:209], v[206:207], s[4:5], v[208:209]
	v_fma_f64 v[84:85], v[206:207], s[4:5], v[84:85]
	v_mul_f64 v[206:207], v[32:33], s[4:5]
	v_fma_f64 v[188:189], v[36:37], s[18:19], v[188:189]
	v_mul_f64 v[36:37], v[36:37], s[0:1]
	v_add_f64 v[230:231], v[20:21], v[28:29]
	v_add_f64 v[234:235], v[20:21], -v[28:29]
	v_add_f64 v[20:21], v[198:199], -v[178:179]
	v_mul_f64 v[190:191], v[208:209], s[12:13]
	v_add_f64 v[28:29], v[204:205], -v[202:203]
	v_fma_f64 v[206:207], v[84:85], s[12:13], -v[206:207]
	v_mul_f64 v[84:85], v[84:85], s[4:5]
	v_fma_f64 v[36:37], v[86:87], s[18:19], v[36:37]
	v_add_f64 v[86:87], v[4:5], -v[196:197]
	v_add_f64 v[216:217], v[180:181], v[188:189]
	v_add_f64 v[244:245], v[180:181], -v[188:189]
	v_fma_f64 v[190:191], v[82:83], s[4:5], v[190:191]
	v_mul_f64 v[82:83], v[82:83], s[14:15]
	v_add_f64 v[180:181], v[172:173], -v[8:9]
	v_fma_f64 v[32:33], v[32:33], s[14:15], -v[84:85]
	v_add_f64 v[218:219], v[24:25], v[36:37]
	v_add_f64 v[246:247], v[24:25], -v[36:37]
	v_add_f64 v[24:25], v[202:203], -v[204:205]
	;; [unrolled: 1-line block ×3, first 2 shown]
	v_add_f64 v[220:221], v[18:19], v[190:191]
	v_add_f64 v[240:241], v[18:19], -v[190:191]
	v_fma_f64 v[18:19], v[16:17], -0.5, v[184:185]
	v_add_f64 v[226:227], v[22:23], v[32:33]
	v_add_f64 v[238:239], v[22:23], -v[32:33]
	v_add_f64 v[22:23], v[200:201], -v[194:195]
	v_add_f64 v[24:25], v[24:25], v[26:27]
	v_fma_f64 v[82:83], v[208:209], s[4:5], v[82:83]
	v_add_f64 v[32:33], v[204:205], -v[252:253]
	v_add_f64 v[36:37], v[36:37], v[38:39]
	v_fma_f64 v[16:17], v[20:21], s[12:13], v[18:19]
	v_fma_f64 v[18:19], v[20:21], s[14:15], v[18:19]
	v_add_f64 v[84:85], v[6:7], -v[8:9]
	v_add_f64 v[86:87], v[86:87], v[174:175]
	v_add_f64 v[174:175], v[196:197], -v[4:5]
	v_add_f64 v[222:223], v[30:31], v[82:83]
	v_add_f64 v[242:243], v[30:31], -v[82:83]
	v_add_f64 v[30:31], v[252:253], -v[254:255]
	v_fma_f64 v[16:17], v[22:23], s[16:17], v[16:17]
	v_fma_f64 v[18:19], v[22:23], s[0:1], v[18:19]
	v_add_f64 v[82:83], v[194:195], -v[178:179]
	v_add_f64 v[224:225], v[14:15], v[206:207]
	v_add_f64 v[236:237], v[14:15], -v[206:207]
	v_add_f64 v[14:15], v[184:185], v[202:203]
	ds_write_b128 v120, v[212:215]
	ds_write_b128 v120, v[216:219] offset:2560
	ds_write_b128 v120, v[220:223] offset:5120
	;; [unrolled: 1-line block ×9, first 2 shown]
	v_fma_f64 v[16:17], v[24:25], s[4:5], v[16:17]
	v_fma_f64 v[18:19], v[24:25], s[4:5], v[18:19]
	v_add_f64 v[24:25], v[202:203], v[254:255]
	v_add_f64 v[28:29], v[28:29], v[30:31]
	v_add_f64 v[80:81], v[80:81], v[82:83]
	v_add_f64 v[14:15], v[14:15], v[204:205]
	v_fma_f64 v[24:25], v[24:25], -0.5, v[184:185]
	v_add_f64 v[14:15], v[14:15], v[252:253]
	v_fma_f64 v[26:27], v[22:23], s[14:15], v[24:25]
	v_fma_f64 v[22:23], v[22:23], s[12:13], v[24:25]
	v_add_f64 v[24:25], v[200:201], v[194:195]
	v_add_f64 v[14:15], v[14:15], v[254:255]
	v_fma_f64 v[26:27], v[20:21], s[16:17], v[26:27]
	v_fma_f64 v[20:21], v[20:21], s[0:1], v[22:23]
	v_fma_f64 v[24:25], v[24:25], -0.5, v[186:187]
	v_add_f64 v[22:23], v[186:187], v[198:199]
	v_fma_f64 v[26:27], v[28:29], s[4:5], v[26:27]
	v_fma_f64 v[20:21], v[28:29], s[4:5], v[20:21]
	v_add_f64 v[28:29], v[202:203], -v[254:255]
	v_add_f64 v[22:23], v[22:23], v[200:201]
	v_fma_f64 v[30:31], v[28:29], s[14:15], v[24:25]
	v_fma_f64 v[24:25], v[28:29], s[12:13], v[24:25]
	v_add_f64 v[22:23], v[22:23], v[194:195]
	v_fma_f64 v[30:31], v[32:33], s[0:1], v[30:31]
	v_fma_f64 v[24:25], v[32:33], s[16:17], v[24:25]
	;; [unrolled: 3-line block ×3, first 2 shown]
	v_add_f64 v[36:37], v[198:199], v[178:179]
	v_add_f64 v[178:179], v[192:193], -v[176:177]
	v_fma_f64 v[36:37], v[36:37], -0.5, v[186:187]
	v_add_f64 v[174:175], v[174:175], v[178:179]
	v_add_f64 v[178:179], v[0:1], -v[6:7]
	v_fma_f64 v[38:39], v[32:33], s[12:13], v[36:37]
	v_fma_f64 v[32:33], v[32:33], s[14:15], v[36:37]
	v_add_f64 v[36:37], v[196:197], v[192:193]
	v_add_f64 v[178:179], v[178:179], v[180:181]
	v_fma_f64 v[38:39], v[28:29], s[0:1], v[38:39]
	v_fma_f64 v[28:29], v[28:29], s[16:17], v[32:33]
	v_fma_f64 v[36:37], v[36:37], -0.5, v[10:11]
	v_add_f64 v[32:33], v[10:11], v[4:5]
	v_fma_f64 v[38:39], v[80:81], s[4:5], v[38:39]
	v_fma_f64 v[28:29], v[80:81], s[4:5], v[28:29]
	v_add_f64 v[80:81], v[0:1], -v[172:173]
	v_add_f64 v[32:33], v[32:33], v[196:197]
	v_fma_f64 v[82:83], v[80:81], s[12:13], v[36:37]
	v_fma_f64 v[36:37], v[80:81], s[14:15], v[36:37]
	v_add_f64 v[32:33], v[32:33], v[192:193]
	v_fma_f64 v[82:83], v[84:85], s[16:17], v[82:83]
	v_fma_f64 v[36:37], v[84:85], s[0:1], v[36:37]
	;; [unrolled: 3-line block ×3, first 2 shown]
	v_add_f64 v[86:87], v[4:5], v[176:177]
	v_add_f64 v[4:5], v[4:5], -v[176:177]
	v_add_f64 v[176:177], v[196:197], -v[192:193]
	;; [unrolled: 1-line block ×3, first 2 shown]
	v_fma_f64 v[10:11], v[86:87], -0.5, v[10:11]
	v_fma_f64 v[86:87], v[84:85], s[14:15], v[10:11]
	v_fma_f64 v[10:11], v[84:85], s[12:13], v[10:11]
	v_add_f64 v[84:85], v[6:7], v[8:9]
	v_fma_f64 v[86:87], v[80:81], s[16:17], v[86:87]
	v_fma_f64 v[10:11], v[80:81], s[0:1], v[10:11]
	v_fma_f64 v[84:85], v[84:85], -0.5, v[2:3]
	v_add_f64 v[80:81], v[2:3], v[0:1]
	v_fma_f64 v[86:87], v[174:175], s[4:5], v[86:87]
	v_fma_f64 v[10:11], v[174:175], s[4:5], v[10:11]
	;; [unrolled: 1-line block ×3, first 2 shown]
	v_add_f64 v[80:81], v[80:81], v[6:7]
	v_fma_f64 v[84:85], v[4:5], s[12:13], v[84:85]
	v_fma_f64 v[174:175], v[176:177], s[0:1], v[174:175]
	v_add_f64 v[80:81], v[80:81], v[8:9]
	v_fma_f64 v[84:85], v[176:177], s[16:17], v[84:85]
	v_fma_f64 v[182:183], v[178:179], s[4:5], v[174:175]
	v_add_f64 v[174:175], v[0:1], v[172:173]
	v_add_f64 v[0:1], v[6:7], -v[0:1]
	v_add_f64 v[6:7], v[8:9], -v[172:173]
	v_mul_f64 v[8:9], v[10:11], s[4:5]
	v_fma_f64 v[84:85], v[178:179], s[4:5], v[84:85]
	v_add_f64 v[80:81], v[80:81], v[172:173]
	v_add_f64 v[172:173], v[14:15], v[32:33]
	v_fma_f64 v[2:3], v[174:175], -0.5, v[2:3]
	v_add_f64 v[0:1], v[0:1], v[6:7]
	v_fma_f64 v[174:175], v[176:177], s[12:13], v[2:3]
	v_fma_f64 v[2:3], v[176:177], s[14:15], v[2:3]
	;; [unrolled: 1-line block ×6, first 2 shown]
	v_mul_f64 v[2:3], v[182:183], s[16:17]
	v_mul_f64 v[174:175], v[36:37], s[18:19]
	;; [unrolled: 1-line block ×3, first 2 shown]
	v_fma_f64 v[8:9], v[0:1], s[12:13], -v[8:9]
	v_mul_f64 v[0:1], v[0:1], s[4:5]
	v_fma_f64 v[2:3], v[82:83], s[18:19], v[2:3]
	v_mul_f64 v[82:83], v[82:83], s[0:1]
	v_fma_f64 v[194:195], v[84:85], s[16:17], -v[174:175]
	v_add_f64 v[174:175], v[22:23], v[80:81]
	v_fma_f64 v[4:5], v[86:87], s[4:5], v[4:5]
	v_mul_f64 v[86:87], v[86:87], s[14:15]
	v_fma_f64 v[0:1], v[10:11], s[14:15], -v[0:1]
	v_mul_f64 v[10:11], v[84:85], s[18:19]
	v_fma_f64 v[82:83], v[182:183], s[18:19], v[82:83]
	v_add_f64 v[176:177], v[16:17], v[2:3]
	v_add_f64 v[184:185], v[20:21], v[8:9]
	;; [unrolled: 1-line block ×4, first 2 shown]
	v_fma_f64 v[6:7], v[6:7], s[4:5], v[86:87]
	v_add_f64 v[186:187], v[28:29], v[0:1]
	v_fma_f64 v[10:11], v[36:37], s[0:1], -v[10:11]
	v_add_f64 v[178:179], v[30:31], v[82:83]
	v_add_f64 v[196:197], v[16:17], -v[2:3]
	v_add_f64 v[204:205], v[26:27], -v[4:5]
	v_add_f64 v[200:201], v[20:21], -v[8:9]
	v_add_f64 v[208:209], v[18:19], -v[194:195]
	v_add_f64 v[182:183], v[38:39], v[6:7]
	v_add_f64 v[194:195], v[22:23], -v[80:81]
	v_add_f64 v[190:191], v[24:25], v[10:11]
	v_add_f64 v[198:199], v[30:31], -v[82:83]
	v_add_f64 v[206:207], v[38:39], -v[6:7]
	;; [unrolled: 1-line block ×4, first 2 shown]
	s_and_saveexec_b64 s[0:1], vcc
	s_cbranch_execz .LBB0_11
; %bb.10:
	ds_write_b128 v120, v[172:175] offset:1600
	ds_write_b128 v120, v[176:179] offset:4160
	;; [unrolled: 1-line block ×10, first 2 shown]
.LBB0_11:
	s_or_b64 exec, exec, s[0:1]
	s_add_u32 s4, s6, 0x6400
	s_addc_u32 s5, s7, 0
	v_lshlrev_b32_e32 v18, 4, v121
	s_waitcnt lgkmcnt(0)
	s_barrier
	global_load_dwordx4 v[6:9], v18, s[4:5]
	ds_read_b128 v[2:5], v120
	v_add_co_u32_e64 v0, s[0:1], s4, v18
	v_mov_b32_e32 v1, s5
	v_addc_co_u32_e64 v1, s[0:1], 0, v1, s[0:1]
	s_movk_i32 s0, 0x1000
	s_waitcnt vmcnt(0) lgkmcnt(0)
	v_mul_f64 v[10:11], v[4:5], v[8:9]
	v_fma_f64 v[14:15], v[2:3], v[6:7], -v[10:11]
	v_mul_f64 v[2:3], v[2:3], v[8:9]
	v_fma_f64 v[16:17], v[4:5], v[6:7], v[2:3]
	global_load_dwordx4 v[6:9], v18, s[4:5] offset:2560
	ds_read_b128 v[2:5], v120 offset:2560
	ds_write_b128 v120, v[14:17]
	s_waitcnt vmcnt(0) lgkmcnt(1)
	v_mul_f64 v[10:11], v[4:5], v[8:9]
	v_fma_f64 v[14:15], v[2:3], v[6:7], -v[10:11]
	v_mul_f64 v[2:3], v[2:3], v[8:9]
	v_fma_f64 v[16:17], v[4:5], v[6:7], v[2:3]
	v_add_co_u32_e64 v6, s[0:1], s0, v0
	v_addc_co_u32_e64 v7, s[0:1], 0, v1, s[0:1]
	global_load_dwordx4 v[8:11], v[6:7], off offset:1024
	ds_read_b128 v[2:5], v120 offset:5120
	s_movk_i32 s0, 0x3000
	ds_write_b128 v120, v[14:17] offset:2560
	s_waitcnt vmcnt(0) lgkmcnt(1)
	v_mul_f64 v[14:15], v[4:5], v[10:11]
	v_fma_f64 v[14:15], v[2:3], v[8:9], -v[14:15]
	v_mul_f64 v[2:3], v[2:3], v[10:11]
	v_fma_f64 v[16:17], v[4:5], v[8:9], v[2:3]
	global_load_dwordx4 v[8:11], v[6:7], off offset:3584
	ds_read_b128 v[2:5], v120 offset:7680
	ds_write_b128 v120, v[14:17] offset:5120
	s_waitcnt vmcnt(0) lgkmcnt(1)
	v_mul_f64 v[14:15], v[4:5], v[10:11]
	v_fma_f64 v[14:15], v[2:3], v[8:9], -v[14:15]
	v_mul_f64 v[2:3], v[2:3], v[10:11]
	v_fma_f64 v[16:17], v[4:5], v[8:9], v[2:3]
	global_load_dwordx4 v[8:11], v35, s[4:5]
	ds_read_b128 v[2:5], v120 offset:10240
	ds_write_b128 v120, v[14:17] offset:7680
	s_waitcnt vmcnt(0) lgkmcnt(1)
	v_mul_f64 v[14:15], v[4:5], v[10:11]
	v_fma_f64 v[14:15], v[2:3], v[8:9], -v[14:15]
	v_mul_f64 v[2:3], v[2:3], v[10:11]
	v_fma_f64 v[16:17], v[4:5], v[8:9], v[2:3]
	v_add_co_u32_e64 v4, s[0:1], s0, v0
	v_addc_co_u32_e64 v5, s[0:1], 0, v1, s[0:1]
	ds_read_b128 v[8:11], v120 offset:12800
	s_movk_i32 s0, 0x4000
	ds_write_b128 v120, v[14:17] offset:10240
	global_load_dwordx4 v[14:17], v[4:5], off offset:512
	s_waitcnt vmcnt(0) lgkmcnt(1)
	v_mul_f64 v[2:3], v[10:11], v[16:17]
	v_fma_f64 v[18:19], v[8:9], v[14:15], -v[2:3]
	v_mul_f64 v[2:3], v[8:9], v[16:17]
	v_fma_f64 v[20:21], v[10:11], v[14:15], v[2:3]
	global_load_dwordx4 v[14:17], v[4:5], off offset:3072
	ds_read_b128 v[8:11], v120 offset:15360
	ds_write_b128 v120, v[18:21] offset:12800
	s_waitcnt vmcnt(0) lgkmcnt(1)
	v_mul_f64 v[2:3], v[10:11], v[16:17]
	v_fma_f64 v[18:19], v[8:9], v[14:15], -v[2:3]
	v_mul_f64 v[2:3], v[8:9], v[16:17]
	v_fma_f64 v[20:21], v[10:11], v[14:15], v[2:3]
	v_add_co_u32_e64 v2, s[0:1], s0, v0
	v_addc_co_u32_e64 v3, s[0:1], 0, v1, s[0:1]
	global_load_dwordx4 v[14:17], v[2:3], off offset:1536
	ds_read_b128 v[8:11], v120 offset:17920
	s_movk_i32 s0, 0x5000
	ds_write_b128 v120, v[18:21] offset:15360
	s_waitcnt vmcnt(0) lgkmcnt(1)
	v_mul_f64 v[18:19], v[10:11], v[16:17]
	v_fma_f64 v[18:19], v[8:9], v[14:15], -v[18:19]
	v_mul_f64 v[8:9], v[8:9], v[16:17]
	v_fma_f64 v[20:21], v[10:11], v[14:15], v[8:9]
	global_load_dwordx4 v[14:17], v34, s[4:5]
	ds_read_b128 v[8:11], v120 offset:20480
	ds_write_b128 v120, v[18:21] offset:17920
	s_waitcnt vmcnt(0) lgkmcnt(1)
	v_mul_f64 v[18:19], v[10:11], v[16:17]
	v_fma_f64 v[18:19], v[8:9], v[14:15], -v[18:19]
	v_mul_f64 v[8:9], v[8:9], v[16:17]
	v_fma_f64 v[20:21], v[10:11], v[14:15], v[8:9]
	v_add_co_u32_e64 v8, s[0:1], s0, v0
	v_addc_co_u32_e64 v9, s[0:1], 0, v1, s[0:1]
	ds_read_b128 v[14:17], v120 offset:23040
	ds_write_b128 v120, v[18:21] offset:20480
	global_load_dwordx4 v[18:21], v[8:9], off offset:2560
	s_waitcnt vmcnt(0) lgkmcnt(1)
	v_mul_f64 v[10:11], v[16:17], v[20:21]
	v_fma_f64 v[22:23], v[14:15], v[18:19], -v[10:11]
	v_mul_f64 v[10:11], v[14:15], v[20:21]
	v_fma_f64 v[24:25], v[16:17], v[18:19], v[10:11]
	ds_write_b128 v120, v[22:25] offset:23040
	s_and_saveexec_b64 s[4:5], vcc
	s_cbranch_execz .LBB0_13
; %bb.12:
	global_load_dwordx4 v[18:21], v[0:1], off offset:1600
	ds_read_b128 v[14:17], v120 offset:1600
	s_movk_i32 s0, 0x2000
	s_waitcnt vmcnt(0) lgkmcnt(0)
	v_mul_f64 v[10:11], v[16:17], v[20:21]
	v_fma_f64 v[22:23], v[14:15], v[18:19], -v[10:11]
	v_mul_f64 v[10:11], v[14:15], v[20:21]
	v_fma_f64 v[24:25], v[16:17], v[18:19], v[10:11]
	global_load_dwordx4 v[18:21], v[6:7], off offset:64
	ds_read_b128 v[14:17], v120 offset:4160
	ds_write_b128 v120, v[22:25] offset:1600
	s_waitcnt vmcnt(0) lgkmcnt(1)
	v_mul_f64 v[10:11], v[16:17], v[20:21]
	v_fma_f64 v[22:23], v[14:15], v[18:19], -v[10:11]
	v_mul_f64 v[10:11], v[14:15], v[20:21]
	v_fma_f64 v[24:25], v[16:17], v[18:19], v[10:11]
	global_load_dwordx4 v[18:21], v[6:7], off offset:2624
	ds_read_b128 v[14:17], v120 offset:6720
	ds_write_b128 v120, v[22:25] offset:4160
	s_waitcnt vmcnt(0) lgkmcnt(1)
	v_mul_f64 v[6:7], v[16:17], v[20:21]
	v_fma_f64 v[22:23], v[14:15], v[18:19], -v[6:7]
	v_mul_f64 v[6:7], v[14:15], v[20:21]
	v_fma_f64 v[24:25], v[16:17], v[18:19], v[6:7]
	v_add_co_u32_e64 v6, s[0:1], s0, v0
	v_addc_co_u32_e64 v7, s[0:1], 0, v1, s[0:1]
	global_load_dwordx4 v[18:21], v[6:7], off offset:1088
	ds_read_b128 v[14:17], v120 offset:9280
	s_movk_i32 s0, 0x6000
	ds_write_b128 v120, v[22:25] offset:6720
	v_add_co_u32_e64 v0, s[0:1], s0, v0
	v_addc_co_u32_e64 v1, s[0:1], 0, v1, s[0:1]
	s_waitcnt vmcnt(0) lgkmcnt(1)
	v_mul_f64 v[10:11], v[16:17], v[20:21]
	v_fma_f64 v[22:23], v[14:15], v[18:19], -v[10:11]
	v_mul_f64 v[10:11], v[14:15], v[20:21]
	v_fma_f64 v[24:25], v[16:17], v[18:19], v[10:11]
	global_load_dwordx4 v[18:21], v[6:7], off offset:3648
	ds_read_b128 v[14:17], v120 offset:11840
	ds_write_b128 v120, v[22:25] offset:9280
	s_waitcnt vmcnt(0) lgkmcnt(1)
	v_mul_f64 v[6:7], v[16:17], v[20:21]
	v_fma_f64 v[22:23], v[14:15], v[18:19], -v[6:7]
	v_mul_f64 v[6:7], v[14:15], v[20:21]
	v_fma_f64 v[24:25], v[16:17], v[18:19], v[6:7]
	global_load_dwordx4 v[4:7], v[4:5], off offset:2112
	ds_read_b128 v[14:17], v120 offset:14400
	ds_write_b128 v120, v[22:25] offset:11840
	s_waitcnt vmcnt(0) lgkmcnt(1)
	v_mul_f64 v[10:11], v[16:17], v[6:7]
	v_mul_f64 v[6:7], v[14:15], v[6:7]
	v_fma_f64 v[18:19], v[14:15], v[4:5], -v[10:11]
	v_fma_f64 v[20:21], v[16:17], v[4:5], v[6:7]
	global_load_dwordx4 v[14:17], v[2:3], off offset:576
	ds_read_b128 v[4:7], v120 offset:16960
	ds_write_b128 v120, v[18:21] offset:14400
	s_waitcnt vmcnt(0) lgkmcnt(1)
	v_mul_f64 v[10:11], v[6:7], v[16:17]
	v_fma_f64 v[18:19], v[4:5], v[14:15], -v[10:11]
	v_mul_f64 v[4:5], v[4:5], v[16:17]
	v_fma_f64 v[20:21], v[6:7], v[14:15], v[4:5]
	global_load_dwordx4 v[14:17], v[2:3], off offset:3136
	ds_read_b128 v[4:7], v120 offset:19520
	ds_write_b128 v120, v[18:21] offset:16960
	s_waitcnt vmcnt(0) lgkmcnt(1)
	v_mul_f64 v[2:3], v[6:7], v[16:17]
	v_fma_f64 v[2:3], v[4:5], v[14:15], -v[2:3]
	v_mul_f64 v[4:5], v[4:5], v[16:17]
	v_fma_f64 v[4:5], v[6:7], v[14:15], v[4:5]
	global_load_dwordx4 v[6:9], v[8:9], off offset:1600
	ds_write_b128 v120, v[2:5] offset:19520
	ds_read_b128 v[2:5], v120 offset:22080
	s_waitcnt vmcnt(0) lgkmcnt(0)
	v_mul_f64 v[10:11], v[4:5], v[8:9]
	v_fma_f64 v[14:15], v[2:3], v[6:7], -v[10:11]
	v_mul_f64 v[2:3], v[2:3], v[8:9]
	v_fma_f64 v[16:17], v[4:5], v[6:7], v[2:3]
	global_load_dwordx4 v[6:9], v[0:1], off offset:64
	ds_read_b128 v[2:5], v120 offset:24640
	ds_write_b128 v120, v[14:17] offset:22080
	s_waitcnt vmcnt(0) lgkmcnt(1)
	v_mul_f64 v[0:1], v[4:5], v[8:9]
	v_fma_f64 v[0:1], v[2:3], v[6:7], -v[0:1]
	v_mul_f64 v[2:3], v[2:3], v[8:9]
	v_fma_f64 v[2:3], v[4:5], v[6:7], v[2:3]
	ds_write_b128 v120, v[0:3] offset:24640
.LBB0_13:
	s_or_b64 exec, exec, s[4:5]
	s_waitcnt lgkmcnt(0)
	s_barrier
	ds_read_b128 v[4:7], v120
	ds_read_b128 v[228:231], v120 offset:2560
	ds_read_b128 v[0:3], v120 offset:5120
	ds_read_b128 v[212:215], v120 offset:7680
	ds_read_b128 v[8:11], v120 offset:10240
	ds_read_b128 v[216:219], v120 offset:12800
	ds_read_b128 v[232:235], v120 offset:15360
	ds_read_b128 v[220:223], v120 offset:17920
	ds_read_b128 v[236:239], v120 offset:20480
	ds_read_b128 v[224:227], v120 offset:23040
	s_and_saveexec_b64 s[0:1], vcc
	s_cbranch_execz .LBB0_15
; %bb.14:
	ds_read_b128 v[172:175], v120 offset:1600
	ds_read_b128 v[176:179], v120 offset:4160
	;; [unrolled: 1-line block ×10, first 2 shown]
.LBB0_15:
	s_or_b64 exec, exec, s[0:1]
	s_waitcnt lgkmcnt(7)
	v_add_f64 v[14:15], v[4:5], v[0:1]
	s_waitcnt lgkmcnt(1)
	v_add_f64 v[18:19], v[2:3], -v[238:239]
	s_mov_b32 s4, 0x134454ff
	s_mov_b32 s5, 0xbfee6f0e
	s_mov_b32 s13, 0x3fee6f0e
	s_mov_b32 s12, s4
	v_add_f64 v[20:21], v[10:11], -v[234:235]
	v_add_f64 v[22:23], v[0:1], -v[8:9]
	v_add_f64 v[14:15], v[14:15], v[8:9]
	v_add_f64 v[24:25], v[236:237], -v[232:233]
	s_mov_b32 s6, 0x4755a5e
	s_mov_b32 s7, 0xbfe2cf23
	;; [unrolled: 1-line block ×6, first 2 shown]
	v_add_f64 v[14:15], v[14:15], v[232:233]
	v_add_f64 v[22:23], v[22:23], v[24:25]
	v_add_f64 v[24:25], v[8:9], -v[0:1]
	v_add_f64 v[26:27], v[232:233], -v[236:237]
	v_add_f64 v[28:29], v[238:239], -v[234:235]
	s_waitcnt lgkmcnt(0)
	v_add_f64 v[32:33], v[224:225], -v[220:221]
	v_add_f64 v[34:35], v[216:217], -v[212:213]
	;; [unrolled: 1-line block ×3, first 2 shown]
	v_add_f64 v[248:249], v[14:15], v[236:237]
	v_add_f64 v[14:15], v[8:9], v[232:233]
	v_add_f64 v[8:9], v[8:9], -v[232:233]
	v_add_f64 v[24:25], v[24:25], v[26:27]
	v_add_f64 v[26:27], v[2:3], -v[10:11]
	v_add_f64 v[38:39], v[216:217], -v[220:221]
	;; [unrolled: 1-line block ×3, first 2 shown]
	v_add_f64 v[34:35], v[34:35], v[36:37]
	v_add_f64 v[82:83], v[226:227], -v[222:223]
	v_fma_f64 v[16:17], v[14:15], -0.5, v[4:5]
	v_add_f64 v[84:85], v[218:219], -v[214:215]
	v_add_f64 v[86:87], v[222:223], -v[226:227]
	v_add_f64 v[26:27], v[26:27], v[28:29]
	s_mov_b32 s16, 0x9b97f4a8
	s_mov_b32 s17, 0x3fe9e377
	;; [unrolled: 1-line block ×3, first 2 shown]
	v_add_f64 v[80:81], v[80:81], v[82:83]
	v_fma_f64 v[14:15], v[18:19], s[4:5], v[16:17]
	v_fma_f64 v[16:17], v[18:19], s[12:13], v[16:17]
	v_add_f64 v[84:85], v[84:85], v[86:87]
	s_mov_b32 s18, s14
	s_mov_b32 s21, 0xbfe9e377
	;; [unrolled: 1-line block ×3, first 2 shown]
	s_barrier
	v_fma_f64 v[14:15], v[20:21], s[6:7], v[14:15]
	v_fma_f64 v[16:17], v[20:21], s[0:1], v[16:17]
	v_fma_f64 v[14:15], v[22:23], s[14:15], v[14:15]
	v_fma_f64 v[16:17], v[22:23], s[14:15], v[16:17]
	v_add_f64 v[22:23], v[0:1], v[236:237]
	v_add_f64 v[0:1], v[0:1], -v[236:237]
	v_fma_f64 v[4:5], v[22:23], -0.5, v[4:5]
	v_fma_f64 v[22:23], v[20:21], s[12:13], v[4:5]
	v_fma_f64 v[4:5], v[20:21], s[4:5], v[4:5]
	;; [unrolled: 1-line block ×6, first 2 shown]
	v_add_f64 v[4:5], v[6:7], v[2:3]
	v_add_f64 v[4:5], v[4:5], v[10:11]
	;; [unrolled: 1-line block ×5, first 2 shown]
	v_fma_f64 v[4:5], v[4:5], -0.5, v[6:7]
	v_fma_f64 v[24:25], v[0:1], s[12:13], v[4:5]
	v_fma_f64 v[4:5], v[0:1], s[4:5], v[4:5]
	;; [unrolled: 1-line block ×6, first 2 shown]
	v_add_f64 v[4:5], v[2:3], v[238:239]
	v_add_f64 v[2:3], v[10:11], -v[2:3]
	v_add_f64 v[10:11], v[234:235], -v[238:239]
	v_fma_f64 v[4:5], v[4:5], -0.5, v[6:7]
	v_add_f64 v[2:3], v[2:3], v[10:11]
	v_add_f64 v[10:11], v[212:213], -v[216:217]
	v_fma_f64 v[6:7], v[8:9], s[4:5], v[4:5]
	v_fma_f64 v[4:5], v[8:9], s[12:13], v[4:5]
	v_add_f64 v[8:9], v[218:219], -v[222:223]
	v_add_f64 v[10:11], v[10:11], v[32:33]
	v_fma_f64 v[6:7], v[0:1], s[0:1], v[6:7]
	v_fma_f64 v[0:1], v[0:1], s[6:7], v[4:5]
	v_add_f64 v[4:5], v[214:215], -v[226:227]
	v_fma_f64 v[28:29], v[2:3], s[14:15], v[6:7]
	v_fma_f64 v[30:31], v[2:3], s[14:15], v[0:1]
	v_add_f64 v[2:3], v[216:217], v[220:221]
	v_add_f64 v[0:1], v[228:229], v[212:213]
	v_fma_f64 v[2:3], v[2:3], -0.5, v[228:229]
	v_add_f64 v[0:1], v[0:1], v[216:217]
	v_add_f64 v[216:217], v[206:207], -v[210:211]
	v_fma_f64 v[6:7], v[4:5], s[4:5], v[2:3]
	v_fma_f64 v[2:3], v[4:5], s[12:13], v[2:3]
	v_add_f64 v[0:1], v[0:1], v[220:221]
	v_fma_f64 v[6:7], v[8:9], s[6:7], v[6:7]
	v_fma_f64 v[2:3], v[8:9], s[0:1], v[2:3]
	v_add_f64 v[0:1], v[0:1], v[224:225]
	;; [unrolled: 3-line block ×3, first 2 shown]
	v_fma_f64 v[10:11], v[10:11], -0.5, v[228:229]
	v_add_f64 v[228:229], v[248:249], v[0:1]
	v_fma_f64 v[32:33], v[8:9], s[12:13], v[10:11]
	v_fma_f64 v[8:9], v[8:9], s[4:5], v[10:11]
	;; [unrolled: 1-line block ×4, first 2 shown]
	v_add_f64 v[8:9], v[230:231], v[214:215]
	v_fma_f64 v[32:33], v[34:35], s[14:15], v[32:33]
	v_fma_f64 v[4:5], v[34:35], s[14:15], v[4:5]
	v_add_f64 v[8:9], v[8:9], v[218:219]
	v_add_f64 v[34:35], v[212:213], -v[224:225]
	v_add_f64 v[212:213], v[210:211], -v[206:207]
	v_add_f64 v[8:9], v[8:9], v[222:223]
	v_add_f64 v[10:11], v[8:9], v[226:227]
	;; [unrolled: 1-line block ×3, first 2 shown]
	v_fma_f64 v[8:9], v[8:9], -0.5, v[230:231]
	v_fma_f64 v[36:37], v[34:35], s[12:13], v[8:9]
	v_fma_f64 v[8:9], v[34:35], s[4:5], v[8:9]
	;; [unrolled: 1-line block ×6, first 2 shown]
	v_add_f64 v[80:81], v[214:215], v[226:227]
	v_mul_f64 v[86:87], v[8:9], s[6:7]
	v_fma_f64 v[80:81], v[80:81], -0.5, v[230:231]
	v_add_f64 v[230:231], v[20:21], v[10:11]
	v_add_f64 v[10:11], v[20:21], -v[10:11]
	v_add_f64 v[20:21], v[182:183], -v[202:203]
	v_fma_f64 v[86:87], v[2:3], s[20:21], v[86:87]
	v_fma_f64 v[82:83], v[38:39], s[4:5], v[80:81]
	;; [unrolled: 1-line block ×3, first 2 shown]
	v_add_f64 v[244:245], v[16:17], v[86:87]
	v_fma_f64 v[82:83], v[34:35], s[0:1], v[82:83]
	v_fma_f64 v[34:35], v[34:35], s[6:7], v[38:39]
	v_mul_f64 v[38:39], v[36:37], s[6:7]
	v_fma_f64 v[82:83], v[84:85], s[14:15], v[82:83]
	v_fma_f64 v[34:35], v[84:85], s[14:15], v[34:35]
	v_fma_f64 v[38:39], v[6:7], s[16:17], v[38:39]
	v_mul_f64 v[6:7], v[6:7], s[0:1]
	v_mul_f64 v[80:81], v[82:83], s[4:5]
	;; [unrolled: 1-line block ×4, first 2 shown]
	v_fma_f64 v[6:7], v[36:37], s[16:17], v[6:7]
	v_mul_f64 v[36:37], v[82:83], s[14:15]
	v_add_f64 v[232:233], v[14:15], v[38:39]
	v_add_f64 v[82:83], v[204:205], -v[208:209]
	v_fma_f64 v[80:81], v[32:33], s[14:15], v[80:81]
	v_fma_f64 v[84:85], v[4:5], s[18:19], v[84:85]
	;; [unrolled: 1-line block ×3, first 2 shown]
	v_mul_f64 v[4:5], v[8:9], s[20:21]
	v_fma_f64 v[32:33], v[32:33], s[12:13], v[36:37]
	v_add_f64 v[8:9], v[248:249], -v[0:1]
	v_add_f64 v[248:249], v[16:17], -v[86:87]
	v_add_f64 v[234:235], v[24:25], v[6:7]
	v_add_f64 v[236:237], v[22:23], v[80:81]
	;; [unrolled: 1-line block ×3, first 2 shown]
	v_add_f64 v[0:1], v[22:23], -v[80:81]
	v_fma_f64 v[36:37], v[2:3], s[0:1], v[4:5]
	v_add_f64 v[4:5], v[14:15], -v[38:39]
	v_add_f64 v[14:15], v[196:197], v[188:189]
	v_add_f64 v[252:253], v[18:19], -v[84:85]
	v_add_f64 v[6:7], v[24:25], -v[6:7]
	v_add_f64 v[22:23], v[190:191], -v[198:199]
	v_add_f64 v[18:19], v[180:181], -v[188:189]
	v_add_f64 v[24:25], v[200:201], -v[196:197]
	v_add_f64 v[238:239], v[28:29], v[32:33]
	v_add_f64 v[246:247], v[26:27], v[36:37]
	v_fma_f64 v[16:17], v[14:15], -0.5, v[172:173]
	v_add_f64 v[2:3], v[28:29], -v[32:33]
	v_add_f64 v[250:251], v[26:27], -v[36:37]
	;; [unrolled: 1-line block ×4, first 2 shown]
	v_add_f64 v[18:19], v[24:25], v[18:19]
	v_add_f64 v[242:243], v[30:31], v[34:35]
	v_add_f64 v[254:255], v[30:31], -v[34:35]
	v_fma_f64 v[14:15], v[20:21], s[4:5], v[16:17]
	v_fma_f64 v[16:17], v[20:21], s[12:13], v[16:17]
	v_add_f64 v[30:31], v[188:189], -v[196:197]
	v_add_f64 v[32:33], v[202:203], -v[198:199]
	v_add_f64 v[26:27], v[28:29], v[26:27]
	v_add_f64 v[28:29], v[180:181], -v[200:201]
	v_add_f64 v[34:35], v[190:191], -v[182:183]
	;; [unrolled: 1-line block ×3, first 2 shown]
	v_fma_f64 v[14:15], v[22:23], s[6:7], v[14:15]
	v_fma_f64 v[16:17], v[22:23], s[0:1], v[16:17]
	v_add_f64 v[38:39], v[184:185], -v[192:193]
	v_add_f64 v[80:81], v[208:209], -v[204:205]
	ds_write_b128 v123, v[228:231]
	ds_write_b128 v123, v[232:235] offset:16
	ds_write_b128 v123, v[236:239] offset:32
	;; [unrolled: 1-line block ×9, first 2 shown]
	v_add_f64 v[34:35], v[36:37], v[34:35]
	v_fma_f64 v[14:15], v[18:19], s[14:15], v[14:15]
	v_fma_f64 v[16:17], v[18:19], s[14:15], v[16:17]
	v_add_f64 v[18:19], v[200:201], v[180:181]
	v_add_f64 v[36:37], v[194:195], -v[206:207]
	v_add_f64 v[38:39], v[80:81], v[38:39]
	v_fma_f64 v[24:25], v[18:19], -0.5, v[172:173]
	v_fma_f64 v[18:19], v[22:23], s[12:13], v[24:25]
	v_fma_f64 v[22:23], v[22:23], s[4:5], v[24:25]
	;; [unrolled: 1-line block ×4, first 2 shown]
	v_add_f64 v[22:23], v[198:199], v[190:191]
	v_fma_f64 v[18:19], v[26:27], s[14:15], v[18:19]
	v_fma_f64 v[20:21], v[26:27], s[14:15], v[20:21]
	v_fma_f64 v[24:25], v[22:23], -0.5, v[174:175]
	v_add_f64 v[26:27], v[182:183], -v[190:191]
	v_fma_f64 v[22:23], v[28:29], s[12:13], v[24:25]
	v_fma_f64 v[24:25], v[28:29], s[4:5], v[24:25]
	v_add_f64 v[26:27], v[32:33], v[26:27]
	v_fma_f64 v[22:23], v[30:31], s[0:1], v[22:23]
	v_fma_f64 v[24:25], v[30:31], s[6:7], v[24:25]
	;; [unrolled: 1-line block ×4, first 2 shown]
	v_add_f64 v[26:27], v[202:203], v[182:183]
	v_fma_f64 v[32:33], v[26:27], -0.5, v[174:175]
	v_fma_f64 v[26:27], v[30:31], s[4:5], v[32:33]
	v_fma_f64 v[30:31], v[30:31], s[12:13], v[32:33]
	v_add_f64 v[32:33], v[186:187], -v[210:211]
	v_fma_f64 v[26:27], v[28:29], s[0:1], v[26:27]
	v_fma_f64 v[28:29], v[28:29], s[6:7], v[30:31]
	v_add_f64 v[30:31], v[192:193], v[204:205]
	v_fma_f64 v[26:27], v[34:35], s[14:15], v[26:27]
	v_fma_f64 v[28:29], v[34:35], s[14:15], v[28:29]
	v_fma_f64 v[30:31], v[30:31], -0.5, v[176:177]
	v_fma_f64 v[34:35], v[32:33], s[4:5], v[30:31]
	v_fma_f64 v[30:31], v[32:33], s[12:13], v[30:31]
	;; [unrolled: 1-line block ×6, first 2 shown]
	v_add_f64 v[30:31], v[208:209], v[184:185]
	v_add_f64 v[38:39], v[192:193], -v[184:185]
	v_fma_f64 v[30:31], v[30:31], -0.5, v[176:177]
	v_add_f64 v[38:39], v[82:83], v[38:39]
	v_fma_f64 v[34:35], v[36:37], s[12:13], v[30:31]
	v_fma_f64 v[30:31], v[36:37], s[4:5], v[30:31]
	v_add_f64 v[36:37], v[192:193], -v[204:205]
	v_fma_f64 v[34:35], v[32:33], s[6:7], v[34:35]
	v_fma_f64 v[30:31], v[32:33], s[0:1], v[30:31]
	v_add_f64 v[32:33], v[184:185], -v[208:209]
	v_fma_f64 v[82:83], v[38:39], s[14:15], v[34:35]
	v_fma_f64 v[86:87], v[38:39], s[14:15], v[30:31]
	v_add_f64 v[30:31], v[194:195], v[206:207]
	v_add_f64 v[38:39], v[186:187], -v[194:195]
	v_fma_f64 v[30:31], v[30:31], -0.5, v[178:179]
	v_add_f64 v[38:39], v[212:213], v[38:39]
	v_fma_f64 v[34:35], v[32:33], s[12:13], v[30:31]
	v_fma_f64 v[30:31], v[32:33], s[4:5], v[30:31]
	;; [unrolled: 1-line block ×6, first 2 shown]
	v_add_f64 v[30:31], v[210:211], v[186:187]
	v_add_f64 v[38:39], v[194:195], -v[186:187]
	v_fma_f64 v[30:31], v[30:31], -0.5, v[178:179]
	v_add_f64 v[38:39], v[216:217], v[38:39]
	v_fma_f64 v[34:35], v[36:37], s[4:5], v[30:31]
	v_fma_f64 v[30:31], v[36:37], s[12:13], v[30:31]
	v_mul_f64 v[36:37], v[214:215], s[6:7]
	v_fma_f64 v[34:35], v[32:33], s[0:1], v[34:35]
	v_fma_f64 v[30:31], v[32:33], s[6:7], v[30:31]
	;; [unrolled: 1-line block ×5, first 2 shown]
	v_mul_f64 v[30:31], v[212:213], s[6:7]
	v_mul_f64 v[38:39], v[212:213], s[16:17]
	v_add_f64 v[220:221], v[16:17], -v[36:37]
	v_mul_f64 v[32:33], v[216:217], s[4:5]
	v_mul_f64 v[34:35], v[218:219], s[4:5]
	v_fma_f64 v[30:31], v[80:81], s[16:17], v[30:31]
	v_fma_f64 v[38:39], v[80:81], s[0:1], v[38:39]
	v_mul_f64 v[80:81], v[216:217], s[14:15]
	v_fma_f64 v[32:33], v[82:83], s[14:15], v[32:33]
	v_fma_f64 v[34:35], v[86:87], s[18:19], v[34:35]
	v_add_f64 v[212:213], v[14:15], -v[30:31]
	v_fma_f64 v[80:81], v[82:83], s[12:13], v[80:81]
	v_mul_f64 v[82:83], v[218:219], s[18:19]
	v_add_f64 v[216:217], v[18:19], -v[32:33]
	v_add_f64 v[224:225], v[20:21], -v[34:35]
	;; [unrolled: 1-line block ×3, first 2 shown]
	v_fma_f64 v[82:83], v[86:87], s[12:13], v[82:83]
	v_mul_f64 v[86:87], v[214:215], s[20:21]
	v_add_f64 v[214:215], v[22:23], -v[38:39]
	v_add_f64 v[226:227], v[28:29], -v[82:83]
	v_fma_f64 v[84:85], v[84:85], s[0:1], v[86:87]
	v_add_f64 v[222:223], v[24:25], -v[84:85]
	s_and_saveexec_b64 s[0:1], vcc
	s_cbranch_execz .LBB0_17
; %bb.16:
	v_add_f64 v[4:5], v[180:181], v[172:173]
	v_add_f64 v[6:7], v[184:185], v[176:177]
	;; [unrolled: 1-line block ×20, first 2 shown]
	buffer_load_dword v14, off, s[24:27], 0 offset:192 ; 4-byte Folded Reload
	buffer_load_dword v15, off, s[24:27], 0 offset:196 ; 4-byte Folded Reload
	v_add_f64 v[24:25], v[202:203], v[24:25]
	v_add_f64 v[26:27], v[210:211], v[8:9]
	;; [unrolled: 1-line block ×4, first 2 shown]
	v_add_f64 v[16:17], v[24:25], -v[26:27]
	v_add_f64 v[26:27], v[26:27], v[24:25]
	v_add_f64 v[24:25], v[36:37], v[28:29]
	s_waitcnt vmcnt(0)
	v_lshl_add_u32 v18, v15, 4, v14
	v_add_f64 v[14:15], v[28:29], -v[36:37]
	ds_write_b128 v18, v[212:215] offset:96
	ds_write_b128 v18, v[216:219] offset:112
	;; [unrolled: 1-line block ×7, first 2 shown]
	ds_write_b128 v18, v[24:27]
	ds_write_b128 v18, v[14:17] offset:80
	ds_write_b128 v18, v[220:223] offset:144
.LBB0_17:
	s_or_b64 exec, exec, s[0:1]
	s_waitcnt lgkmcnt(0)
	s_barrier
	ds_read_b128 v[0:3], v120
	ds_read_b128 v[4:7], v120 offset:1600
	ds_read_b128 v[8:11], v120 offset:3200
	;; [unrolled: 1-line block ×15, first 2 shown]
	s_waitcnt lgkmcnt(14)
	v_mul_f64 v[38:39], v[74:75], v[6:7]
	s_mov_b32 s0, 0x667f3bcd
	s_mov_b32 s1, 0xbfe6a09e
	;; [unrolled: 1-line block ×7, first 2 shown]
	v_fma_f64 v[38:39], v[72:73], v[4:5], v[38:39]
	v_mul_f64 v[4:5], v[74:75], v[4:5]
	s_mov_b32 s13, 0x3fd87de2
	s_mov_b32 s7, 0xbfd87de2
	;; [unrolled: 1-line block ×5, first 2 shown]
	v_fma_f64 v[4:5], v[72:73], v[6:7], -v[4:5]
	s_waitcnt lgkmcnt(13)
	v_mul_f64 v[6:7], v[58:59], v[10:11]
	v_fma_f64 v[6:7], v[56:57], v[8:9], v[6:7]
	v_mul_f64 v[8:9], v[58:59], v[8:9]
	s_waitcnt lgkmcnt(1)
	v_mul_f64 v[58:59], v[110:111], v[186:187]
	v_fma_f64 v[8:9], v[56:57], v[10:11], -v[8:9]
	v_mul_f64 v[10:11], v[50:51], v[16:17]
	v_fma_f64 v[58:59], v[108:109], v[184:185], v[58:59]
	v_mul_f64 v[56:57], v[126:127], v[180:181]
	v_fma_f64 v[10:11], v[48:49], v[14:15], v[10:11]
	v_mul_f64 v[14:15], v[50:51], v[14:15]
	v_fma_f64 v[56:57], v[124:125], v[182:183], -v[56:57]
	v_fma_f64 v[14:15], v[48:49], v[16:17], -v[14:15]
	buffer_load_dword v48, off, s[24:27], 0 offset:176 ; 4-byte Folded Reload
	buffer_load_dword v49, off, s[24:27], 0 offset:180 ; 4-byte Folded Reload
	;; [unrolled: 1-line block ×4, first 2 shown]
	s_waitcnt vmcnt(0) lgkmcnt(0)
	s_barrier
	v_mul_f64 v[16:17], v[50:51], v[20:21]
	v_fma_f64 v[16:17], v[48:49], v[18:19], v[16:17]
	v_mul_f64 v[18:19], v[50:51], v[18:19]
	v_mul_f64 v[50:51], v[66:67], v[178:179]
	v_fma_f64 v[18:19], v[48:49], v[20:21], -v[18:19]
	v_mul_f64 v[20:21], v[98:99], v[24:25]
	v_fma_f64 v[50:51], v[64:65], v[176:177], v[50:51]
	v_mul_f64 v[48:49], v[70:71], v[172:173]
	v_fma_f64 v[20:21], v[96:97], v[22:23], v[20:21]
	v_mul_f64 v[22:23], v[98:99], v[22:23]
	v_add_f64 v[50:51], v[16:17], -v[50:51]
	v_fma_f64 v[48:49], v[68:69], v[174:175], -v[48:49]
	v_fma_f64 v[22:23], v[96:97], v[24:25], -v[22:23]
	v_mul_f64 v[24:25], v[62:63], v[28:29]
	v_fma_f64 v[16:17], v[16:17], 2.0, -v[50:51]
	v_add_f64 v[48:49], v[14:15], -v[48:49]
	v_add_f64 v[56:57], v[22:23], -v[56:57]
	v_fma_f64 v[24:25], v[60:61], v[26:27], v[24:25]
	v_mul_f64 v[26:27], v[62:63], v[26:27]
	v_mul_f64 v[62:63], v[94:95], v[190:191]
	v_fma_f64 v[14:15], v[14:15], 2.0, -v[48:49]
	v_fma_f64 v[22:23], v[22:23], 2.0, -v[56:57]
	v_add_f64 v[58:59], v[24:25], -v[58:59]
	v_fma_f64 v[26:27], v[60:61], v[28:29], -v[26:27]
	v_mul_f64 v[28:29], v[54:55], v[32:33]
	v_mul_f64 v[60:61], v[110:111], v[184:185]
	v_fma_f64 v[62:63], v[92:93], v[188:189], v[62:63]
	v_fma_f64 v[24:25], v[24:25], 2.0, -v[58:59]
	v_fma_f64 v[28:29], v[52:53], v[30:31], v[28:29]
	v_mul_f64 v[30:31], v[54:55], v[30:31]
	v_fma_f64 v[60:61], v[108:109], v[186:187], -v[60:61]
	v_mul_f64 v[54:55], v[126:127], v[182:183]
	v_add_f64 v[62:63], v[28:29], -v[62:63]
	v_fma_f64 v[30:31], v[52:53], v[32:33], -v[30:31]
	v_mul_f64 v[32:33], v[46:47], v[36:37]
	v_mul_f64 v[52:53], v[66:67], v[176:177]
	v_add_f64 v[60:61], v[26:27], -v[60:61]
	v_fma_f64 v[54:55], v[124:125], v[180:181], v[54:55]
	v_fma_f64 v[28:29], v[28:29], 2.0, -v[62:63]
	v_add_f64 v[62:63], v[48:49], -v[62:63]
	v_fma_f64 v[32:33], v[44:45], v[34:35], v[32:33]
	v_mul_f64 v[34:35], v[46:47], v[34:35]
	v_fma_f64 v[52:53], v[64:65], v[178:179], -v[52:53]
	v_mul_f64 v[64:65], v[94:95], v[188:189]
	v_fma_f64 v[26:27], v[26:27], 2.0, -v[60:61]
	v_mul_f64 v[46:47], v[70:71], v[174:175]
	v_add_f64 v[54:55], v[20:21], -v[54:55]
	v_fma_f64 v[48:49], v[48:49], 2.0, -v[62:63]
	v_add_f64 v[32:33], v[0:1], -v[32:33]
	v_fma_f64 v[34:35], v[44:45], v[36:37], -v[34:35]
	v_mul_f64 v[36:37], v[42:43], v[82:83]
	v_mul_f64 v[42:43], v[42:43], v[80:81]
	;; [unrolled: 1-line block ×3, first 2 shown]
	v_add_f64 v[52:53], v[18:19], -v[52:53]
	v_fma_f64 v[64:65], v[92:93], v[190:191], -v[64:65]
	v_fma_f64 v[46:47], v[68:69], v[172:173], v[46:47]
	v_fma_f64 v[0:1], v[0:1], 2.0, -v[32:33]
	v_add_f64 v[34:35], v[2:3], -v[34:35]
	v_fma_f64 v[36:37], v[40:41], v[80:81], v[36:37]
	v_fma_f64 v[40:41], v[40:41], v[82:83], -v[42:43]
	v_mul_f64 v[42:43], v[78:79], v[86:87]
	v_fma_f64 v[44:45], v[76:77], v[86:87], -v[44:45]
	v_fma_f64 v[18:19], v[18:19], 2.0, -v[52:53]
	v_add_f64 v[64:65], v[30:31], -v[64:65]
	v_add_f64 v[16:17], v[0:1], -v[16:17]
	v_fma_f64 v[2:3], v[2:3], 2.0, -v[34:35]
	v_add_f64 v[50:51], v[34:35], -v[50:51]
	v_add_f64 v[40:41], v[4:5], -v[40:41]
	v_fma_f64 v[42:43], v[76:77], v[84:85], v[42:43]
	v_add_f64 v[44:45], v[8:9], -v[44:45]
	v_add_f64 v[36:37], v[38:39], -v[36:37]
	;; [unrolled: 1-line block ×3, first 2 shown]
	v_fma_f64 v[30:31], v[30:31], 2.0, -v[64:65]
	v_add_f64 v[18:19], v[2:3], -v[18:19]
	v_fma_f64 v[0:1], v[0:1], 2.0, -v[16:17]
	v_fma_f64 v[4:5], v[4:5], 2.0, -v[40:41]
	v_add_f64 v[42:43], v[6:7], -v[42:43]
	v_fma_f64 v[8:9], v[8:9], 2.0, -v[44:45]
	v_add_f64 v[58:59], v[44:45], -v[58:59]
	v_add_f64 v[52:53], v[32:33], v[52:53]
	v_fma_f64 v[34:35], v[34:35], 2.0, -v[50:51]
	v_fma_f64 v[2:3], v[2:3], 2.0, -v[18:19]
	;; [unrolled: 1-line block ×5, first 2 shown]
	v_add_f64 v[26:27], v[8:9], -v[26:27]
	v_add_f64 v[60:61], v[42:43], v[60:61]
	v_fma_f64 v[44:45], v[44:45], 2.0, -v[58:59]
	v_fma_f64 v[10:11], v[10:11], 2.0, -v[46:47]
	;; [unrolled: 1-line block ×3, first 2 shown]
	v_add_f64 v[22:23], v[4:5], -v[22:23]
	v_add_f64 v[30:31], v[14:15], -v[30:31]
	;; [unrolled: 1-line block ×3, first 2 shown]
	v_fma_f64 v[8:9], v[8:9], 2.0, -v[26:27]
	v_fma_f64 v[42:43], v[42:43], 2.0, -v[60:61]
	v_add_f64 v[20:21], v[38:39], -v[20:21]
	v_add_f64 v[56:57], v[36:37], v[56:57]
	v_add_f64 v[28:29], v[10:11], -v[28:29]
	v_fma_f64 v[4:5], v[4:5], 2.0, -v[22:23]
	v_fma_f64 v[14:15], v[14:15], 2.0, -v[30:31]
	;; [unrolled: 1-line block ×3, first 2 shown]
	v_add_f64 v[68:69], v[2:3], -v[8:9]
	v_add_f64 v[64:65], v[46:47], v[64:65]
	v_fma_f64 v[38:39], v[38:39], 2.0, -v[20:21]
	v_add_f64 v[54:55], v[40:41], -v[54:55]
	v_fma_f64 v[36:37], v[36:37], 2.0, -v[56:57]
	v_fma_f64 v[10:11], v[10:11], 2.0, -v[28:29]
	v_add_f64 v[74:75], v[16:17], v[26:27]
	v_add_f64 v[66:67], v[0:1], -v[6:7]
	v_fma_f64 v[8:9], v[2:3], 2.0, -v[68:69]
	v_fma_f64 v[2:3], v[44:45], s[0:1], v[34:35]
	v_fma_f64 v[46:47], v[46:47], 2.0, -v[64:65]
	v_fma_f64 v[40:41], v[40:41], 2.0, -v[54:55]
	v_add_f64 v[76:77], v[18:19], -v[24:25]
	v_add_f64 v[82:83], v[22:23], -v[28:29]
	v_fma_f64 v[24:25], v[16:17], 2.0, -v[74:75]
	v_fma_f64 v[6:7], v[0:1], 2.0, -v[66:67]
	v_fma_f64 v[0:1], v[42:43], s[0:1], v[32:33]
	v_fma_f64 v[72:73], v[42:43], s[0:1], v[2:3]
	;; [unrolled: 1-line block ×4, first 2 shown]
	v_fma_f64 v[26:27], v[18:19], 2.0, -v[76:77]
	v_fma_f64 v[70:71], v[44:45], s[4:5], v[0:1]
	v_fma_f64 v[0:1], v[60:61], s[4:5], v[52:53]
	;; [unrolled: 1-line block ×3, first 2 shown]
	v_add_f64 v[60:61], v[4:5], -v[14:15]
	v_fma_f64 v[34:35], v[34:35], 2.0, -v[72:73]
	v_fma_f64 v[32:33], v[32:33], 2.0, -v[70:71]
	v_fma_f64 v[78:79], v[58:59], s[4:5], v[0:1]
	v_add_f64 v[58:59], v[38:39], -v[10:11]
	v_fma_f64 v[2:3], v[4:5], 2.0, -v[60:61]
	v_fma_f64 v[4:5], v[46:47], s[0:1], v[36:37]
	v_fma_f64 v[10:11], v[48:49], s[0:1], v[40:41]
	v_fma_f64 v[50:51], v[50:51], 2.0, -v[80:81]
	v_fma_f64 v[52:53], v[52:53], 2.0, -v[78:79]
	;; [unrolled: 1-line block ×3, first 2 shown]
	v_add_f64 v[2:3], v[8:9], -v[2:3]
	v_fma_f64 v[38:39], v[48:49], s[4:5], v[4:5]
	v_fma_f64 v[48:49], v[46:47], s[0:1], v[10:11]
	;; [unrolled: 1-line block ×4, first 2 shown]
	v_add_f64 v[0:1], v[6:7], -v[0:1]
	v_fma_f64 v[10:11], v[36:37], 2.0, -v[38:39]
	v_fma_f64 v[14:15], v[40:41], 2.0, -v[48:49]
	v_add_f64 v[36:37], v[20:21], v[30:31]
	v_fma_f64 v[62:63], v[62:63], s[4:5], v[4:5]
	v_fma_f64 v[28:29], v[54:55], 2.0, -v[64:65]
	v_add_f64 v[54:55], v[68:69], -v[58:59]
	v_fma_f64 v[4:5], v[6:7], 2.0, -v[0:1]
	v_fma_f64 v[6:7], v[8:9], 2.0, -v[2:3]
	v_fma_f64 v[8:9], v[10:11], s[14:15], v[32:33]
	v_fma_f64 v[16:17], v[14:15], s[14:15], v[34:35]
	v_fma_f64 v[18:19], v[20:21], 2.0, -v[36:37]
	v_fma_f64 v[20:21], v[22:23], 2.0, -v[82:83]
	v_fma_f64 v[22:23], v[56:57], 2.0, -v[62:63]
	v_fma_f64 v[8:9], v[14:15], s[12:13], v[8:9]
	v_fma_f64 v[10:11], v[10:11], s[6:7], v[16:17]
	;; [unrolled: 1-line block ×3, first 2 shown]
	v_fma_f64 v[14:15], v[32:33], 2.0, -v[8:9]
	v_fma_f64 v[32:33], v[20:21], s[0:1], v[26:27]
	v_fma_f64 v[40:41], v[20:21], s[4:5], v[30:31]
	;; [unrolled: 1-line block ×3, first 2 shown]
	v_fma_f64 v[16:17], v[34:35], 2.0, -v[10:11]
	v_fma_f64 v[34:35], v[36:37], s[4:5], v[74:75]
	v_fma_f64 v[42:43], v[18:19], s[0:1], v[32:33]
	v_fma_f64 v[18:19], v[24:25], 2.0, -v[40:41]
	v_fma_f64 v[24:25], v[22:23], s[6:7], v[52:53]
	v_fma_f64 v[32:33], v[48:49], s[12:13], v[72:73]
	;; [unrolled: 1-line block ×4, first 2 shown]
	v_fma_f64 v[20:21], v[26:27], 2.0, -v[42:43]
	v_fma_f64 v[26:27], v[28:29], s[6:7], v[50:51]
	v_fma_f64 v[44:45], v[28:29], s[16:17], v[24:25]
	v_fma_f64 v[28:29], v[68:69], 2.0, -v[54:55]
	v_fma_f64 v[30:31], v[70:71], 2.0, -v[48:49]
	v_fma_f64 v[34:35], v[74:75], 2.0, -v[56:57]
	v_fma_f64 v[46:47], v[22:23], s[14:15], v[26:27]
	v_fma_f64 v[22:23], v[52:53], 2.0, -v[44:45]
	v_add_f64 v[52:53], v[66:67], v[60:61]
	v_fma_f64 v[24:25], v[50:51], 2.0, -v[46:47]
	v_fma_f64 v[50:51], v[38:39], s[14:15], v[32:33]
	v_fma_f64 v[38:39], v[82:83], s[4:5], v[76:77]
	v_fma_f64 v[26:27], v[66:67], 2.0, -v[52:53]
	v_fma_f64 v[66:67], v[64:65], s[16:17], v[80:81]
	v_fma_f64 v[32:33], v[72:73], 2.0, -v[50:51]
	v_fma_f64 v[58:59], v[36:37], s[0:1], v[38:39]
	v_fma_f64 v[38:39], v[62:63], s[16:17], v[78:79]
	;; [unrolled: 1-line block ×3, first 2 shown]
	v_fma_f64 v[36:37], v[76:77], 2.0, -v[58:59]
	v_fma_f64 v[60:61], v[64:65], s[12:13], v[38:39]
	v_fma_f64 v[66:67], v[80:81], 2.0, -v[62:63]
	v_fma_f64 v[64:65], v[78:79], 2.0, -v[60:61]
	ds_write_b128 v122, v[4:7]
	ds_write_b128 v122, v[14:17] offset:160
	ds_write_b128 v122, v[18:21] offset:320
	;; [unrolled: 1-line block ×15, first 2 shown]
	s_waitcnt lgkmcnt(0)
	s_barrier
	ds_read_b128 v[0:3], v120
	ds_read_b128 v[108:111], v120 offset:2560
	ds_read_b128 v[96:99], v120 offset:5120
	;; [unrolled: 1-line block ×9, first 2 shown]
	s_and_saveexec_b64 s[0:1], vcc
	s_cbranch_execz .LBB0_19
; %bb.18:
	ds_read_b128 v[40:43], v120 offset:1600
	ds_read_b128 v[44:47], v120 offset:4160
	;; [unrolled: 1-line block ×10, first 2 shown]
.LBB0_19:
	s_or_b64 exec, exec, s[0:1]
	s_waitcnt lgkmcnt(5)
	v_mul_f64 v[26:27], v[134:135], v[78:79]
	s_waitcnt lgkmcnt(4)
	v_mul_f64 v[30:31], v[158:159], v[74:75]
	;; [unrolled: 2-line block ×3, first 2 shown]
	v_mul_f64 v[18:19], v[162:163], v[98:99]
	v_mul_f64 v[20:21], v[162:163], v[96:97]
	;; [unrolled: 1-line block ×4, first 2 shown]
	s_waitcnt lgkmcnt(1)
	v_mul_f64 v[38:39], v[146:147], v[68:69]
	v_fma_f64 v[26:27], v[132:133], v[76:77], v[26:27]
	v_fma_f64 v[30:31], v[156:157], v[72:73], v[30:31]
	;; [unrolled: 1-line block ×3, first 2 shown]
	v_mul_f64 v[72:73], v[146:147], v[70:71]
	v_fma_f64 v[18:19], v[160:161], v[96:97], v[18:19]
	v_fma_f64 v[20:21], v[160:161], v[98:99], -v[20:21]
	v_fma_f64 v[28:29], v[132:133], v[78:79], -v[28:29]
	;; [unrolled: 1-line block ×3, first 2 shown]
	v_mul_f64 v[64:65], v[142:143], v[64:65]
	v_mul_f64 v[74:75], v[138:139], v[6:7]
	v_add_f64 v[78:79], v[26:27], v[32:33]
	v_fma_f64 v[38:39], v[144:145], v[70:71], -v[38:39]
	v_fma_f64 v[68:69], v[144:145], v[68:69], v[72:73]
	s_waitcnt lgkmcnt(0)
	v_mul_f64 v[70:71], v[150:151], v[10:11]
	v_add_f64 v[36:37], v[0:1], v[18:19]
	v_mul_f64 v[76:77], v[138:139], v[4:5]
	v_mul_f64 v[72:73], v[150:151], v[8:9]
	v_fma_f64 v[64:65], v[140:141], v[66:67], -v[64:65]
	v_fma_f64 v[4:5], v[136:137], v[4:5], v[74:75]
	v_fma_f64 v[66:67], v[78:79], -0.5, v[0:1]
	v_add_f64 v[74:75], v[20:21], -v[38:39]
	v_fma_f64 v[8:9], v[148:149], v[8:9], v[70:71]
	v_add_f64 v[70:71], v[18:19], v[68:69]
	s_mov_b32 s0, 0x134454ff
	s_mov_b32 s1, 0xbfee6f0e
	;; [unrolled: 1-line block ×4, first 2 shown]
	v_add_f64 v[36:37], v[36:37], v[26:27]
	v_fma_f64 v[6:7], v[136:137], v[6:7], -v[76:77]
	v_fma_f64 v[10:11], v[148:149], v[10:11], -v[72:73]
	v_fma_f64 v[72:73], v[74:75], s[0:1], v[66:67]
	v_add_f64 v[76:77], v[28:29], -v[64:65]
	v_add_f64 v[78:79], v[18:19], -v[26:27]
	;; [unrolled: 1-line block ×3, first 2 shown]
	v_fma_f64 v[66:67], v[74:75], s[6:7], v[66:67]
	v_fma_f64 v[0:1], v[70:71], -0.5, v[0:1]
	s_mov_b32 s4, 0x4755a5e
	s_mov_b32 s5, 0xbfe2cf23
	;; [unrolled: 1-line block ×4, first 2 shown]
	v_mul_f64 v[14:15], v[166:167], v[110:111]
	v_mul_f64 v[22:23], v[154:155], v[94:95]
	v_add_f64 v[36:37], v[36:37], v[32:33]
	v_fma_f64 v[70:71], v[76:77], s[4:5], v[72:73]
	v_add_f64 v[72:73], v[78:79], v[80:81]
	v_add_f64 v[78:79], v[28:29], v[64:65]
	v_fma_f64 v[66:67], v[76:77], s[14:15], v[66:67]
	v_fma_f64 v[80:81], v[76:77], s[6:7], v[0:1]
	v_add_f64 v[82:83], v[26:27], -v[18:19]
	v_add_f64 v[84:85], v[32:33], -v[68:69]
	v_add_f64 v[86:87], v[2:3], v[20:21]
	v_fma_f64 v[0:1], v[76:77], s[0:1], v[0:1]
	s_mov_b32 s12, 0x372fe950
	s_mov_b32 s13, 0x3fd3c6ef
	v_mul_f64 v[24:25], v[154:155], v[92:93]
	v_fma_f64 v[14:15], v[164:165], v[108:109], v[14:15]
	v_fma_f64 v[22:23], v[152:153], v[92:93], v[22:23]
	v_add_f64 v[36:37], v[36:37], v[68:69]
	v_fma_f64 v[78:79], v[78:79], -0.5, v[2:3]
	v_add_f64 v[18:19], v[18:19], -v[68:69]
	v_fma_f64 v[68:69], v[72:73], s[12:13], v[70:71]
	v_fma_f64 v[66:67], v[72:73], s[12:13], v[66:67]
	;; [unrolled: 1-line block ×3, first 2 shown]
	v_add_f64 v[72:73], v[82:83], v[84:85]
	v_add_f64 v[76:77], v[86:87], v[28:29]
	v_fma_f64 v[0:1], v[74:75], s[14:15], v[0:1]
	v_fma_f64 v[24:25], v[152:153], v[94:95], -v[24:25]
	v_fma_f64 v[80:81], v[18:19], s[6:7], v[78:79]
	v_add_f64 v[26:27], v[26:27], -v[32:33]
	v_add_f64 v[32:33], v[20:21], -v[28:29]
	;; [unrolled: 1-line block ×3, first 2 shown]
	v_fma_f64 v[78:79], v[18:19], s[0:1], v[78:79]
	v_add_f64 v[84:85], v[20:21], v[38:39]
	v_add_f64 v[74:75], v[76:77], v[64:65]
	v_fma_f64 v[70:71], v[72:73], s[12:13], v[70:71]
	v_add_f64 v[76:77], v[30:31], v[4:5]
	v_fma_f64 v[72:73], v[72:73], s[12:13], v[0:1]
	v_add_f64 v[0:1], v[14:15], v[22:23]
	v_mul_f64 v[16:17], v[166:167], v[108:109]
	v_fma_f64 v[80:81], v[26:27], s[14:15], v[80:81]
	v_add_f64 v[32:33], v[32:33], v[82:83]
	v_fma_f64 v[78:79], v[26:27], s[4:5], v[78:79]
	v_fma_f64 v[2:3], v[84:85], -0.5, v[2:3]
	v_fma_f64 v[76:77], v[76:77], -0.5, v[14:15]
	v_add_f64 v[82:83], v[24:25], -v[10:11]
	v_add_f64 v[0:1], v[0:1], v[30:31]
	v_fma_f64 v[16:17], v[164:165], v[110:111], -v[16:17]
	v_add_f64 v[74:75], v[74:75], v[38:39]
	v_fma_f64 v[80:81], v[32:33], s[12:13], v[80:81]
	v_fma_f64 v[78:79], v[32:33], s[12:13], v[78:79]
	;; [unrolled: 1-line block ×3, first 2 shown]
	v_add_f64 v[20:21], v[28:29], -v[20:21]
	v_add_f64 v[28:29], v[64:65], -v[38:39]
	v_fma_f64 v[2:3], v[26:27], s[6:7], v[2:3]
	v_fma_f64 v[26:27], v[82:83], s[0:1], v[76:77]
	v_add_f64 v[38:39], v[34:35], -v[6:7]
	v_add_f64 v[64:65], v[22:23], -v[30:31]
	;; [unrolled: 1-line block ×3, first 2 shown]
	v_add_f64 v[86:87], v[22:23], v[8:9]
	v_add_f64 v[92:93], v[34:35], v[6:7]
	;; [unrolled: 1-line block ×3, first 2 shown]
	v_fma_f64 v[32:33], v[18:19], s[14:15], v[32:33]
	v_add_f64 v[20:21], v[20:21], v[28:29]
	v_fma_f64 v[2:3], v[18:19], s[4:5], v[2:3]
	v_fma_f64 v[18:19], v[38:39], s[4:5], v[26:27]
	v_add_f64 v[26:27], v[64:65], v[84:85]
	v_fma_f64 v[14:15], v[86:87], -0.5, v[14:15]
	v_fma_f64 v[28:29], v[82:83], s[6:7], v[76:77]
	v_fma_f64 v[64:65], v[92:93], -0.5, v[16:17]
	v_add_f64 v[76:77], v[22:23], -v[8:9]
	v_add_f64 v[86:87], v[0:1], v[8:9]
	v_add_f64 v[0:1], v[24:25], v[10:11]
	v_fma_f64 v[32:33], v[20:21], s[12:13], v[32:33]
	v_fma_f64 v[84:85], v[20:21], s[12:13], v[2:3]
	v_add_f64 v[92:93], v[30:31], -v[4:5]
	v_fma_f64 v[20:21], v[38:39], s[14:15], v[28:29]
	v_add_f64 v[94:95], v[24:25], -v[34:35]
	;; [unrolled: 2-line block ×3, first 2 shown]
	v_fma_f64 v[0:1], v[0:1], -0.5, v[16:17]
	v_add_f64 v[4:5], v[4:5], -v[8:9]
	v_add_f64 v[8:9], v[16:17], v[24:25]
	v_fma_f64 v[2:3], v[38:39], s[6:7], v[14:15]
	v_add_f64 v[22:23], v[30:31], -v[22:23]
	v_fma_f64 v[14:15], v[38:39], s[0:1], v[14:15]
	v_fma_f64 v[16:17], v[92:93], s[14:15], v[28:29]
	v_add_f64 v[28:29], v[94:95], v[96:97]
	v_fma_f64 v[30:31], v[92:93], s[0:1], v[0:1]
	v_add_f64 v[24:25], v[34:35], -v[24:25]
	v_add_f64 v[38:39], v[6:7], -v[10:11]
	v_fma_f64 v[0:1], v[92:93], s[6:7], v[0:1]
	v_add_f64 v[8:9], v[8:9], v[34:35]
	v_fma_f64 v[34:35], v[76:77], s[0:1], v[64:65]
	v_fma_f64 v[2:3], v[82:83], s[4:5], v[2:3]
	v_add_f64 v[4:5], v[22:23], v[4:5]
	v_fma_f64 v[14:15], v[82:83], s[14:15], v[14:15]
	v_fma_f64 v[16:17], v[28:29], s[12:13], v[16:17]
	;; [unrolled: 1-line block ×3, first 2 shown]
	v_add_f64 v[24:25], v[24:25], v[38:39]
	v_fma_f64 v[0:1], v[76:77], s[4:5], v[0:1]
	v_add_f64 v[6:7], v[8:9], v[6:7]
	v_fma_f64 v[8:9], v[92:93], s[4:5], v[34:35]
	v_fma_f64 v[18:19], v[26:27], s[12:13], v[18:19]
	;; [unrolled: 1-line block ×4, first 2 shown]
	v_mul_f64 v[4:5], v[16:17], s[4:5]
	v_fma_f64 v[22:23], v[24:25], s[12:13], v[22:23]
	v_fma_f64 v[24:25], v[24:25], s[12:13], v[0:1]
	v_add_f64 v[38:39], v[6:7], v[10:11]
	v_fma_f64 v[6:7], v[28:29], s[12:13], v[8:9]
	s_mov_b32 s16, 0x9b97f4a8
	s_mov_b32 s17, 0x3fe9e377
	v_mul_f64 v[16:17], v[16:17], s[16:17]
	v_fma_f64 v[20:21], v[26:27], s[12:13], v[20:21]
	v_fma_f64 v[26:27], v[18:19], s[16:17], v[4:5]
	v_mul_f64 v[4:5], v[22:23], s[0:1]
	s_mov_b32 s18, s12
	v_mul_f64 v[22:23], v[22:23], s[12:13]
	v_mul_f64 v[8:9], v[24:25], s[0:1]
	s_mov_b32 s20, s16
	v_mul_f64 v[24:25], v[24:25], s[18:19]
	v_mul_f64 v[10:11], v[6:7], s[4:5]
	;; [unrolled: 1-line block ×3, first 2 shown]
	v_fma_f64 v[76:77], v[18:19], s[14:15], v[16:17]
	v_fma_f64 v[28:29], v[2:3], s[12:13], v[4:5]
	;; [unrolled: 1-line block ×4, first 2 shown]
	v_add_f64 v[0:1], v[36:37], v[86:87]
	v_fma_f64 v[92:93], v[14:15], s[6:7], v[24:25]
	v_fma_f64 v[64:65], v[20:21], s[20:21], v[10:11]
	;; [unrolled: 1-line block ×3, first 2 shown]
	v_add_f64 v[2:3], v[74:75], v[38:39]
	v_add_f64 v[4:5], v[68:69], v[26:27]
	;; [unrolled: 1-line block ×9, first 2 shown]
	v_add_f64 v[22:23], v[36:37], -v[86:87]
	v_add_f64 v[24:25], v[74:75], -v[38:39]
	v_add_f64 v[26:27], v[68:69], -v[26:27]
	v_add_f64 v[30:31], v[70:71], -v[28:29]
	v_add_f64 v[28:29], v[80:81], -v[76:77]
	v_add_f64 v[32:33], v[32:33], -v[82:83]
	v_add_f64 v[34:35], v[72:73], -v[34:35]
	v_add_f64 v[64:65], v[66:67], -v[64:65]
	v_add_f64 v[36:37], v[84:85], -v[92:93]
	v_add_f64 v[66:67], v[78:79], -v[94:95]
	ds_write_b128 v120, v[0:3]
	ds_write_b128 v120, v[4:7] offset:2560
	ds_write_b128 v120, v[8:11] offset:5120
	;; [unrolled: 1-line block ×9, first 2 shown]
	s_and_saveexec_b64 s[22:23], vcc
	s_cbranch_execz .LBB0_21
; %bb.20:
	buffer_load_dword v64, off, s[24:27], 0 offset:200 ; 4-byte Folded Reload
	buffer_load_dword v65, off, s[24:27], 0 offset:204 ; 4-byte Folded Reload
	;; [unrolled: 1-line block ×4, first 2 shown]
	v_mul_f64 v[20:21], v[130:131], v[62:63]
	v_mul_f64 v[28:29], v[90:91], v[46:47]
	;; [unrolled: 1-line block ×8, first 2 shown]
	v_fma_f64 v[36:37], v[128:129], v[60:61], v[20:21]
	v_mul_f64 v[20:21], v[106:107], v[216:217]
	v_fma_f64 v[28:29], v[88:89], v[44:45], v[28:29]
	v_fma_f64 v[30:31], v[128:129], v[62:63], -v[30:31]
	v_mul_f64 v[44:45], v[90:91], v[44:45]
	v_mul_f64 v[10:11], v[118:119], v[226:227]
	v_fma_f64 v[16:17], v[100:101], v[214:215], -v[2:3]
	v_mul_f64 v[26:27], v[106:107], v[218:219]
	v_fma_f64 v[22:23], v[168:169], v[220:221], v[22:23]
	v_fma_f64 v[20:21], v[104:105], v[218:219], -v[20:21]
	v_mul_f64 v[2:3], v[102:103], v[214:215]
	v_fma_f64 v[4:5], v[112:113], v[54:55], -v[4:5]
	v_fma_f64 v[44:45], v[88:89], v[46:47], -v[44:45]
	v_fma_f64 v[8:9], v[112:113], v[52:53], v[8:9]
	v_fma_f64 v[24:25], v[116:117], v[224:225], v[10:11]
	v_fma_f64 v[32:33], v[116:117], v[226:227], -v[6:7]
	v_fma_f64 v[26:27], v[104:105], v[216:217], v[26:27]
	v_add_f64 v[46:47], v[30:31], v[20:21]
	v_add_f64 v[80:81], v[30:31], -v[20:21]
	v_add_f64 v[34:35], v[8:9], -v[24:25]
	v_add_f64 v[78:79], v[32:33], v[4:5]
	v_add_f64 v[72:73], v[36:37], -v[26:27]
	v_fma_f64 v[46:47], v[46:47], -0.5, v[44:45]
	v_add_f64 v[88:89], v[26:27], -v[22:23]
	v_add_f64 v[52:53], v[36:37], v[26:27]
	v_add_f64 v[54:55], v[22:23], -v[26:27]
	v_add_f64 v[92:93], v[16:17], -v[32:33]
	v_fma_f64 v[52:53], v[52:53], -0.5, v[28:29]
	s_waitcnt vmcnt(0)
	v_mul_f64 v[0:1], v[66:67], v[56:57]
	v_mul_f64 v[14:15], v[66:67], v[58:59]
	buffer_load_dword v66, off, s[24:27], 0 offset:216 ; 4-byte Folded Reload
	buffer_load_dword v67, off, s[24:27], 0 offset:220 ; 4-byte Folded Reload
	buffer_load_dword v68, off, s[24:27], 0 offset:224 ; 4-byte Folded Reload
	buffer_load_dword v69, off, s[24:27], 0 offset:228 ; 4-byte Folded Reload
	v_fma_f64 v[0:1], v[64:65], v[58:59], -v[0:1]
	v_fma_f64 v[14:15], v[64:65], v[56:57], v[14:15]
	v_add_f64 v[58:59], v[32:33], -v[16:17]
	v_add_f64 v[10:11], v[16:17], v[0:1]
	v_add_f64 v[6:7], v[4:5], -v[0:1]
	v_fma_f64 v[10:11], v[10:11], -0.5, v[42:43]
	v_add_f64 v[58:59], v[58:59], v[6:7]
	v_fma_f64 v[60:61], v[34:35], s[0:1], v[10:11]
	v_fma_f64 v[10:11], v[34:35], s[6:7], v[10:11]
	s_waitcnt vmcnt(0)
	v_mul_f64 v[18:19], v[68:69], v[50:51]
	v_mul_f64 v[38:39], v[68:69], v[48:49]
	v_fma_f64 v[18:19], v[66:67], v[48:49], v[18:19]
	v_mul_f64 v[48:49], v[170:171], v[220:221]
	v_fma_f64 v[38:39], v[66:67], v[50:51], -v[38:39]
	v_fma_f64 v[50:51], v[100:101], v[212:213], v[2:3]
	v_add_f64 v[66:67], v[18:19], -v[22:23]
	v_fma_f64 v[48:49], v[168:169], v[222:223], -v[48:49]
	v_add_f64 v[68:69], v[22:23], v[18:19]
	v_add_f64 v[70:71], v[38:39], -v[30:31]
	v_add_f64 v[62:63], v[14:15], -v[50:51]
	;; [unrolled: 1-line block ×4, first 2 shown]
	v_fma_f64 v[76:77], v[66:67], s[0:1], v[46:47]
	v_add_f64 v[74:75], v[48:49], -v[20:21]
	v_add_f64 v[64:65], v[48:49], v[38:39]
	v_fma_f64 v[68:69], v[68:69], -0.5, v[28:29]
	v_add_f64 v[56:57], v[38:39], -v[48:49]
	v_fma_f64 v[6:7], v[62:63], s[4:5], v[60:61]
	v_add_f64 v[84:85], v[20:21], -v[48:49]
	v_fma_f64 v[46:47], v[66:67], s[6:7], v[46:47]
	v_add_f64 v[38:39], v[38:39], v[44:45]
	v_add_f64 v[70:71], v[74:75], v[70:71]
	v_fma_f64 v[74:75], v[72:73], s[4:5], v[76:77]
	v_fma_f64 v[76:77], v[78:79], -0.5, v[42:43]
	v_fma_f64 v[64:65], v[64:65], -0.5, v[44:45]
	v_add_f64 v[78:79], v[36:37], -v[18:19]
	v_fma_f64 v[90:91], v[80:81], s[0:1], v[68:69]
	v_add_f64 v[82:83], v[84:85], v[82:83]
	v_fma_f64 v[68:69], v[80:81], s[6:7], v[68:69]
	v_add_f64 v[42:43], v[4:5], v[42:43]
	v_add_f64 v[54:55], v[54:55], v[2:3]
	v_fma_f64 v[94:95], v[62:63], s[6:7], v[76:77]
	v_fma_f64 v[86:87], v[72:73], s[6:7], v[64:65]
	v_add_f64 v[78:79], v[88:89], v[78:79]
	v_fma_f64 v[88:89], v[56:57], s[14:15], v[90:91]
	v_fma_f64 v[76:77], v[62:63], s[0:1], v[76:77]
	v_fma_f64 v[68:69], v[56:57], s[4:5], v[68:69]
	v_fma_f64 v[2:3], v[56:57], s[6:7], v[52:53]
	v_fma_f64 v[52:53], v[56:57], s[0:1], v[52:53]
	v_fma_f64 v[90:91], v[34:35], s[4:5], v[94:95]
	v_fma_f64 v[94:95], v[58:59], s[12:13], v[6:7]
	v_fma_f64 v[6:7], v[72:73], s[0:1], v[64:65]
	v_fma_f64 v[84:85], v[66:67], s[4:5], v[86:87]
	v_fma_f64 v[56:57], v[34:35], s[14:15], v[76:77]
	v_fma_f64 v[34:35], v[78:79], s[12:13], v[68:69]
	v_add_f64 v[42:43], v[0:1], v[42:43]
	v_add_f64 v[30:31], v[30:31], v[38:39]
	v_fma_f64 v[46:47], v[72:73], s[14:15], v[46:47]
	v_fma_f64 v[10:11], v[62:63], s[14:15], v[10:11]
	;; [unrolled: 1-line block ×3, first 2 shown]
	v_add_f64 v[62:63], v[50:51], v[14:15]
	v_fma_f64 v[74:75], v[70:71], s[12:13], v[74:75]
	v_add_f64 v[86:87], v[0:1], -v[4:5]
	v_add_f64 v[42:43], v[16:17], v[42:43]
	v_add_f64 v[20:21], v[20:21], v[30:31]
	v_fma_f64 v[46:47], v[70:71], s[12:13], v[46:47]
	v_add_f64 v[4:5], v[4:5], -v[32:33]
	v_fma_f64 v[44:45], v[82:83], s[12:13], v[66:67]
	v_add_f64 v[70:71], v[14:15], -v[8:9]
	v_add_f64 v[18:19], v[18:19], v[28:29]
	v_fma_f64 v[2:3], v[80:81], s[14:15], v[2:3]
	v_add_f64 v[42:43], v[32:33], v[42:43]
	v_fma_f64 v[62:63], v[62:63], -0.5, v[40:41]
	v_add_f64 v[0:1], v[0:1], -v[16:17]
	v_fma_f64 v[52:53], v[80:81], s[4:5], v[52:53]
	v_mul_f64 v[38:39], v[44:45], s[12:13]
	v_add_f64 v[66:67], v[24:25], -v[50:51]
	v_mul_f64 v[28:29], v[74:75], s[4:5]
	v_fma_f64 v[60:61], v[54:55], s[12:13], v[2:3]
	v_mul_f64 v[2:3], v[74:75], s[20:21]
	v_fma_f64 v[68:69], v[4:5], s[6:7], v[62:63]
	v_fma_f64 v[62:63], v[4:5], s[0:1], v[62:63]
	v_add_f64 v[72:73], v[50:51], -v[24:25]
	v_fma_f64 v[30:31], v[34:35], s[6:7], v[38:39]
	v_add_f64 v[38:39], v[24:25], v[8:9]
	v_fma_f64 v[84:85], v[82:83], s[12:13], v[84:85]
	v_fma_f64 v[52:53], v[54:55], s[12:13], v[52:53]
	;; [unrolled: 1-line block ×3, first 2 shown]
	v_mul_f64 v[54:55], v[46:47], s[16:17]
	v_fma_f64 v[60:61], v[60:61], s[20:21], v[28:29]
	v_add_f64 v[86:87], v[92:93], v[86:87]
	v_fma_f64 v[88:89], v[78:79], s[12:13], v[88:89]
	v_fma_f64 v[32:33], v[38:39], -0.5, v[40:41]
	v_add_f64 v[38:39], v[8:9], -v[14:15]
	v_add_f64 v[8:9], v[8:9], v[40:41]
	v_add_f64 v[40:41], v[72:73], v[70:71]
	v_mul_f64 v[92:93], v[84:85], s[18:19]
	v_mul_f64 v[70:71], v[84:85], s[0:1]
	v_add_f64 v[48:49], v[48:49], v[20:21]
	v_fma_f64 v[58:59], v[58:59], s[12:13], v[10:11]
	v_fma_f64 v[76:77], v[0:1], s[0:1], v[32:33]
	;; [unrolled: 1-line block ×3, first 2 shown]
	v_add_f64 v[8:9], v[14:15], v[8:9]
	v_add_f64 v[14:15], v[36:37], v[18:19]
	;; [unrolled: 1-line block ×3, first 2 shown]
	v_mul_f64 v[36:37], v[44:45], s[0:1]
	v_fma_f64 v[66:67], v[0:1], s[14:15], v[68:69]
	v_fma_f64 v[54:55], v[52:53], s[14:15], v[54:55]
	;; [unrolled: 1-line block ×4, first 2 shown]
	v_add_f64 v[8:9], v[50:51], v[8:9]
	v_add_f64 v[14:15], v[26:27], v[14:15]
	v_fma_f64 v[32:33], v[0:1], s[4:5], v[62:63]
	v_mul_f64 v[26:27], v[46:47], s[4:5]
	v_fma_f64 v[56:57], v[86:87], s[12:13], v[56:57]
	v_fma_f64 v[64:65], v[86:87], s[12:13], v[90:91]
	;; [unrolled: 1-line block ×4, first 2 shown]
	v_add_f64 v[8:9], v[24:25], v[8:9]
	v_add_f64 v[14:15], v[22:23], v[14:15]
	v_fma_f64 v[46:47], v[38:39], s[12:13], v[32:33]
	v_fma_f64 v[50:51], v[52:53], s[16:17], v[26:27]
	;; [unrolled: 1-line block ×6, first 2 shown]
	v_add_f64 v[40:41], v[42:43], v[48:49]
	v_add_f64 v[38:39], v[8:9], v[14:15]
	;; [unrolled: 1-line block ×4, first 2 shown]
	v_add_f64 v[10:11], v[56:57], -v[30:31]
	v_add_f64 v[32:33], v[56:57], v[30:31]
	v_add_f64 v[30:31], v[44:45], v[52:53]
	;; [unrolled: 1-line block ×6, first 2 shown]
	v_add_f64 v[20:21], v[42:43], -v[48:49]
	v_add_f64 v[0:1], v[18:19], -v[60:61]
	;; [unrolled: 1-line block ×9, first 2 shown]
	ds_write_b128 v120, v[38:41] offset:1600
	ds_write_b128 v120, v[34:37] offset:4160
	;; [unrolled: 1-line block ×10, first 2 shown]
.LBB0_21:
	s_or_b64 exec, exec, s[22:23]
	s_waitcnt lgkmcnt(0)
	s_barrier
	ds_read_b128 v[0:3], v120
	buffer_load_dword v4, off, s[24:27], 0  ; 4-byte Folded Reload
	buffer_load_dword v5, off, s[24:27], 0 offset:4 ; 4-byte Folded Reload
	s_mov_b32 s4, 0x47ae147b
	s_mov_b32 s5, 0x3f447ae1
	s_mul_i32 s6, s9, 0x1400
	s_waitcnt vmcnt(1)
	v_mov_b32_e32 v16, v4
	s_waitcnt vmcnt(0)
	ds_read_b128 v[4:7], v120 offset:2560
	buffer_load_dword v19, off, s[24:27], 0 offset:96 ; 4-byte Folded Reload
	buffer_load_dword v20, off, s[24:27], 0 offset:100 ; 4-byte Folded Reload
	;; [unrolled: 1-line block ×4, first 2 shown]
	v_mad_u64_u32 v[8:9], s[0:1], s10, v16, 0
	s_waitcnt vmcnt(0) lgkmcnt(1)
	v_mul_f64 v[10:11], v[21:22], v[2:3]
	v_mul_f64 v[14:15], v[21:22], v[0:1]
	v_fma_f64 v[0:1], v[19:20], v[0:1], v[10:11]
	v_fma_f64 v[2:3], v[19:20], v[2:3], -v[14:15]
	buffer_load_dword v19, off, s[24:27], 0 offset:48 ; 4-byte Folded Reload
	buffer_load_dword v20, off, s[24:27], 0 offset:52 ; 4-byte Folded Reload
	;; [unrolled: 1-line block ×4, first 2 shown]
	v_mad_u64_u32 v[16:17], s[0:1], s11, v16, v[9:10]
	v_mad_u64_u32 v[17:18], s[0:1], s8, v121, 0
	v_mov_b32_e32 v9, v16
	v_mul_f64 v[0:1], v[0:1], s[4:5]
	v_mov_b32_e32 v10, v18
	v_mad_u64_u32 v[10:11], s[0:1], s9, v121, v[10:11]
	v_mul_f64 v[2:3], v[2:3], s[4:5]
	v_lshlrev_b64 v[8:9], 4, v[8:9]
	v_mov_b32_e32 v18, v10
	v_mov_b32_e32 v16, s3
	v_add_co_u32_e64 v28, s[0:1], s2, v8
	v_addc_co_u32_e64 v29, s[0:1], v16, v9, s[0:1]
	v_lshlrev_b64 v[8:9], 4, v[17:18]
	v_add_co_u32_e64 v16, s[0:1], v28, v8
	v_addc_co_u32_e64 v17, s[0:1], v29, v9, s[0:1]
	global_store_dwordx4 v[16:17], v[0:3], off
	s_mul_i32 s0, s9, 0xa0
	s_mul_hi_u32 s1, s8, 0xa0
	s_add_i32 s1, s1, s0
	s_mul_i32 s0, s8, 0xa0
	s_lshl_b64 s[2:3], s[0:1], 4
	v_mov_b32_e32 v30, s3
	v_add_co_u32_e64 v16, s[0:1], s2, v16
	v_addc_co_u32_e64 v17, s[0:1], v17, v30, s[0:1]
	s_waitcnt vmcnt(1) lgkmcnt(0)
	v_mul_f64 v[10:11], v[21:22], v[6:7]
	v_mul_f64 v[14:15], v[21:22], v[4:5]
	v_fma_f64 v[10:11], v[19:20], v[4:5], v[10:11]
	v_fma_f64 v[14:15], v[19:20], v[6:7], -v[14:15]
	ds_read_b128 v[4:7], v120 offset:5120
	v_mul_f64 v[0:1], v[10:11], s[4:5]
	ds_read_b128 v[8:11], v120 offset:7680
	buffer_load_dword v20, off, s[24:27], 0 offset:160 ; 4-byte Folded Reload
	buffer_load_dword v21, off, s[24:27], 0 offset:164 ; 4-byte Folded Reload
	;; [unrolled: 1-line block ×4, first 2 shown]
	v_mul_f64 v[2:3], v[14:15], s[4:5]
	s_waitcnt vmcnt(0) lgkmcnt(1)
	v_mul_f64 v[14:15], v[22:23], v[6:7]
	v_mul_f64 v[18:19], v[22:23], v[4:5]
	v_fma_f64 v[4:5], v[20:21], v[4:5], v[14:15]
	v_fma_f64 v[6:7], v[20:21], v[6:7], -v[18:19]
	buffer_load_dword v20, off, s[24:27], 0 offset:128 ; 4-byte Folded Reload
	buffer_load_dword v21, off, s[24:27], 0 offset:132 ; 4-byte Folded Reload
	;; [unrolled: 1-line block ×4, first 2 shown]
	s_waitcnt vmcnt(0) lgkmcnt(0)
	v_mul_f64 v[14:15], v[22:23], v[10:11]
	v_mul_f64 v[18:19], v[22:23], v[8:9]
	global_store_dwordx4 v[16:17], v[0:3], off
	v_fma_f64 v[8:9], v[20:21], v[8:9], v[14:15]
	v_mul_f64 v[0:1], v[4:5], s[4:5]
	v_mul_f64 v[2:3], v[6:7], s[4:5]
	v_fma_f64 v[10:11], v[20:21], v[10:11], -v[18:19]
	v_add_co_u32_e64 v14, s[0:1], s2, v16
	v_addc_co_u32_e64 v15, s[0:1], v17, v30, s[0:1]
	ds_read_b128 v[4:7], v120 offset:10240
	global_store_dwordx4 v[14:15], v[0:3], off
	s_nop 0
	v_mul_f64 v[0:1], v[8:9], s[4:5]
	v_mul_f64 v[2:3], v[10:11], s[4:5]
	ds_read_b128 v[8:11], v120 offset:12800
	buffer_load_dword v31, off, s[24:27], 0 offset:112 ; 4-byte Folded Reload
	buffer_load_dword v32, off, s[24:27], 0 offset:116 ; 4-byte Folded Reload
	;; [unrolled: 1-line block ×5, first 2 shown]
	s_waitcnt vmcnt(1) lgkmcnt(1)
	v_mul_f64 v[16:17], v[33:34], v[6:7]
	s_waitcnt vmcnt(0)
	v_mad_u64_u32 v[20:21], s[0:1], s8, v24, 0
	v_add_co_u32_e64 v22, s[0:1], s2, v14
	v_mov_b32_e32 v14, v21
	v_addc_co_u32_e64 v23, s[0:1], v15, v30, s[0:1]
	v_mad_u64_u32 v[14:15], s[0:1], s9, v24, v[14:15]
	buffer_load_dword v24, off, s[24:27], 0 offset:32 ; 4-byte Folded Reload
	buffer_load_dword v25, off, s[24:27], 0 offset:36 ; 4-byte Folded Reload
	buffer_load_dword v26, off, s[24:27], 0 offset:40 ; 4-byte Folded Reload
	buffer_load_dword v27, off, s[24:27], 0 offset:44 ; 4-byte Folded Reload
	v_mul_f64 v[18:19], v[33:34], v[4:5]
	v_fma_f64 v[4:5], v[31:32], v[4:5], v[16:17]
	global_store_dwordx4 v[22:23], v[0:3], off
	v_mov_b32_e32 v21, v14
	v_fma_f64 v[6:7], v[31:32], v[6:7], -v[18:19]
	v_mul_f64 v[0:1], v[4:5], s[4:5]
	v_lshlrev_b64 v[19:20], 4, v[20:21]
	v_mov_b32_e32 v31, 0x1400
	v_mul_f64 v[2:3], v[6:7], s[4:5]
	ds_read_b128 v[4:7], v120 offset:15360
	s_waitcnt vmcnt(1) lgkmcnt(1)
	v_mul_f64 v[15:16], v[26:27], v[10:11]
	v_mul_f64 v[17:18], v[26:27], v[8:9]
	v_fma_f64 v[14:15], v[24:25], v[8:9], v[15:16]
	v_fma_f64 v[16:17], v[24:25], v[10:11], -v[17:18]
	ds_read_b128 v[8:11], v120 offset:17920
	buffer_load_dword v32, off, s[24:27], 0 offset:16 ; 4-byte Folded Reload
	buffer_load_dword v33, off, s[24:27], 0 offset:20 ; 4-byte Folded Reload
	;; [unrolled: 1-line block ×4, first 2 shown]
	v_add_co_u32_e64 v18, s[0:1], v28, v19
	v_addc_co_u32_e64 v19, s[0:1], v29, v20, s[0:1]
	v_mad_u64_u32 v[20:21], s[0:1], s8, v31, v[22:23]
	v_mul_f64 v[14:15], v[14:15], s[4:5]
	v_mul_f64 v[16:17], v[16:17], s[4:5]
	v_add_u32_e32 v21, s6, v21
	s_waitcnt vmcnt(0) lgkmcnt(1)
	v_mul_f64 v[24:25], v[34:35], v[6:7]
	v_mul_f64 v[26:27], v[34:35], v[4:5]
	v_fma_f64 v[4:5], v[32:33], v[4:5], v[24:25]
	v_fma_f64 v[6:7], v[32:33], v[6:7], -v[26:27]
	buffer_load_dword v32, off, s[24:27], 0 offset:144 ; 4-byte Folded Reload
	buffer_load_dword v33, off, s[24:27], 0 offset:148 ; 4-byte Folded Reload
	;; [unrolled: 1-line block ×4, first 2 shown]
	s_waitcnt vmcnt(0) lgkmcnt(0)
	v_mul_f64 v[22:23], v[34:35], v[10:11]
	v_mul_f64 v[24:25], v[34:35], v[8:9]
	global_store_dwordx4 v[18:19], v[0:3], off
	global_store_dwordx4 v[20:21], v[14:17], off
	v_mul_f64 v[0:1], v[4:5], s[4:5]
	v_mul_f64 v[2:3], v[6:7], s[4:5]
	v_add_co_u32_e64 v14, s[0:1], s2, v20
	v_fma_f64 v[8:9], v[32:33], v[8:9], v[22:23]
	v_fma_f64 v[10:11], v[32:33], v[10:11], -v[24:25]
	v_addc_co_u32_e64 v15, s[0:1], v21, v30, s[0:1]
	ds_read_b128 v[4:7], v120 offset:20480
	global_store_dwordx4 v[14:15], v[0:3], off
	s_nop 0
	v_mul_f64 v[0:1], v[8:9], s[4:5]
	v_mul_f64 v[2:3], v[10:11], s[4:5]
	ds_read_b128 v[8:11], v120 offset:23040
	buffer_load_dword v32, off, s[24:27], 0 offset:64 ; 4-byte Folded Reload
	buffer_load_dword v33, off, s[24:27], 0 offset:68 ; 4-byte Folded Reload
	;; [unrolled: 1-line block ×5, first 2 shown]
	s_waitcnt vmcnt(1) lgkmcnt(1)
	v_mul_f64 v[16:17], v[34:35], v[6:7]
	v_mul_f64 v[18:19], v[34:35], v[4:5]
	buffer_load_dword v34, off, s[24:27], 0 offset:80 ; 4-byte Folded Reload
	buffer_load_dword v35, off, s[24:27], 0 offset:84 ; 4-byte Folded Reload
	;; [unrolled: 1-line block ×4, first 2 shown]
	s_waitcnt vmcnt(4)
	v_mad_u64_u32 v[20:21], s[0:1], s8, v26, 0
	v_add_co_u32_e64 v14, s[0:1], s2, v14
	v_addc_co_u32_e64 v15, s[0:1], v15, v30, s[0:1]
	v_fma_f64 v[4:5], v[32:33], v[4:5], v[16:17]
	v_fma_f64 v[6:7], v[32:33], v[6:7], -v[18:19]
	v_mov_b32_e32 v16, v21
	v_mad_u64_u32 v[16:17], s[0:1], s9, v26, v[16:17]
	global_store_dwordx4 v[14:15], v[0:3], off
	v_mov_b32_e32 v21, v16
	v_mul_f64 v[2:3], v[4:5], s[4:5]
	v_mul_f64 v[4:5], v[6:7], s[4:5]
	v_mad_u64_u32 v[0:1], s[0:1], s8, v31, v[14:15]
	v_lshlrev_b64 v[16:17], 4, v[20:21]
	v_add_u32_e32 v1, s6, v1
	s_waitcnt vmcnt(1) lgkmcnt(0)
	v_mul_f64 v[22:23], v[36:37], v[10:11]
	v_mul_f64 v[24:25], v[36:37], v[8:9]
	v_fma_f64 v[8:9], v[34:35], v[8:9], v[22:23]
	v_fma_f64 v[10:11], v[34:35], v[10:11], -v[24:25]
	v_mul_f64 v[6:7], v[8:9], s[4:5]
	v_mul_f64 v[8:9], v[10:11], s[4:5]
	v_add_co_u32_e64 v10, s[0:1], v28, v16
	v_addc_co_u32_e64 v11, s[0:1], v29, v17, s[0:1]
	global_store_dwordx4 v[10:11], v[2:5], off
	global_store_dwordx4 v[0:1], v[6:9], off
	s_and_b64 exec, exec, vcc
	s_cbranch_execz .LBB0_23
; %bb.22:
	global_load_dwordx4 v[2:5], v[12:13], off offset:1600
	ds_read_b128 v[6:9], v120 offset:1600
	ds_read_b128 v[14:17], v120 offset:4160
	s_mul_i32 s6, s9, 0xffffac40
	s_movk_i32 s7, 0x1000
	v_mov_b32_e32 v20, s3
	s_waitcnt vmcnt(0) lgkmcnt(1)
	v_mul_f64 v[10:11], v[8:9], v[4:5]
	v_mul_f64 v[4:5], v[6:7], v[4:5]
	v_fma_f64 v[6:7], v[6:7], v[2:3], v[10:11]
	v_fma_f64 v[4:5], v[2:3], v[8:9], -v[4:5]
	v_mov_b32_e32 v8, 0xffffac40
	v_mul_f64 v[2:3], v[6:7], s[4:5]
	v_mul_f64 v[4:5], v[4:5], s[4:5]
	v_mad_u64_u32 v[6:7], s[0:1], s8, v8, v[0:1]
	s_sub_i32 s0, s6, s8
	v_add_co_u32_e32 v8, vcc, s7, v12
	v_add_u32_e32 v7, s0, v7
	v_addc_co_u32_e32 v9, vcc, 0, v13, vcc
	global_store_dwordx4 v[6:7], v[2:5], off
	global_load_dwordx4 v[0:3], v[8:9], off offset:64
	s_movk_i32 s0, 0x2000
	s_waitcnt vmcnt(0) lgkmcnt(0)
	v_mul_f64 v[4:5], v[16:17], v[2:3]
	v_mul_f64 v[2:3], v[14:15], v[2:3]
	v_fma_f64 v[4:5], v[14:15], v[0:1], v[4:5]
	v_fma_f64 v[2:3], v[0:1], v[16:17], -v[2:3]
	v_add_co_u32_e32 v14, vcc, s2, v6
	v_addc_co_u32_e32 v15, vcc, v7, v20, vcc
	v_mul_f64 v[0:1], v[4:5], s[4:5]
	v_mul_f64 v[2:3], v[2:3], s[4:5]
	global_store_dwordx4 v[14:15], v[0:3], off
	global_load_dwordx4 v[0:3], v[8:9], off offset:2624
	ds_read_b128 v[4:7], v120 offset:6720
	ds_read_b128 v[8:11], v120 offset:9280
	s_waitcnt vmcnt(0) lgkmcnt(1)
	v_mul_f64 v[16:17], v[6:7], v[2:3]
	v_mul_f64 v[2:3], v[4:5], v[2:3]
	v_fma_f64 v[4:5], v[4:5], v[0:1], v[16:17]
	v_fma_f64 v[2:3], v[0:1], v[6:7], -v[2:3]
	v_mul_f64 v[0:1], v[4:5], s[4:5]
	v_mul_f64 v[2:3], v[2:3], s[4:5]
	v_add_co_u32_e32 v4, vcc, s0, v12
	v_addc_co_u32_e32 v5, vcc, 0, v13, vcc
	v_add_co_u32_e32 v6, vcc, s2, v14
	v_addc_co_u32_e32 v7, vcc, v15, v20, vcc
	global_store_dwordx4 v[6:7], v[0:3], off
	global_load_dwordx4 v[0:3], v[4:5], off offset:1088
	s_movk_i32 s0, 0x3000
	s_waitcnt vmcnt(0) lgkmcnt(0)
	v_mul_f64 v[14:15], v[10:11], v[2:3]
	v_mul_f64 v[2:3], v[8:9], v[2:3]
	v_fma_f64 v[8:9], v[8:9], v[0:1], v[14:15]
	v_fma_f64 v[2:3], v[0:1], v[10:11], -v[2:3]
	v_add_co_u32_e32 v14, vcc, s2, v6
	v_addc_co_u32_e32 v15, vcc, v7, v20, vcc
	v_mul_f64 v[0:1], v[8:9], s[4:5]
	v_mul_f64 v[2:3], v[2:3], s[4:5]
	global_store_dwordx4 v[14:15], v[0:3], off
	global_load_dwordx4 v[0:3], v[4:5], off offset:3648
	ds_read_b128 v[4:7], v120 offset:11840
	ds_read_b128 v[8:11], v120 offset:14400
	s_waitcnt vmcnt(0) lgkmcnt(1)
	v_mul_f64 v[16:17], v[6:7], v[2:3]
	v_mul_f64 v[2:3], v[4:5], v[2:3]
	v_fma_f64 v[4:5], v[4:5], v[0:1], v[16:17]
	v_fma_f64 v[2:3], v[0:1], v[6:7], -v[2:3]
	v_mul_f64 v[0:1], v[4:5], s[4:5]
	v_mul_f64 v[2:3], v[2:3], s[4:5]
	v_add_co_u32_e32 v4, vcc, s0, v12
	v_addc_co_u32_e32 v5, vcc, 0, v13, vcc
	v_add_co_u32_e32 v6, vcc, s2, v14
	v_addc_co_u32_e32 v7, vcc, v15, v20, vcc
	global_store_dwordx4 v[6:7], v[0:3], off
	global_load_dwordx4 v[0:3], v[4:5], off offset:2112
	s_movk_i32 s0, 0x4000
	v_add_co_u32_e32 v14, vcc, s0, v12
	v_addc_co_u32_e32 v15, vcc, 0, v13, vcc
	v_add_co_u32_e32 v16, vcc, s2, v6
	v_addc_co_u32_e32 v17, vcc, v7, v20, vcc
	s_movk_i32 s0, 0x5000
	s_waitcnt vmcnt(0) lgkmcnt(0)
	v_mul_f64 v[4:5], v[10:11], v[2:3]
	v_mul_f64 v[2:3], v[8:9], v[2:3]
	v_fma_f64 v[4:5], v[8:9], v[0:1], v[4:5]
	v_fma_f64 v[2:3], v[0:1], v[10:11], -v[2:3]
	v_mul_f64 v[0:1], v[4:5], s[4:5]
	v_mul_f64 v[2:3], v[2:3], s[4:5]
	global_store_dwordx4 v[16:17], v[0:3], off
	global_load_dwordx4 v[0:3], v[14:15], off offset:576
	ds_read_b128 v[4:7], v120 offset:16960
	ds_read_b128 v[8:11], v120 offset:19520
	s_waitcnt vmcnt(0) lgkmcnt(1)
	v_mul_f64 v[18:19], v[6:7], v[2:3]
	v_mul_f64 v[2:3], v[4:5], v[2:3]
	v_fma_f64 v[4:5], v[4:5], v[0:1], v[18:19]
	v_fma_f64 v[2:3], v[0:1], v[6:7], -v[2:3]
	v_mul_f64 v[0:1], v[4:5], s[4:5]
	v_mul_f64 v[2:3], v[2:3], s[4:5]
	v_add_co_u32_e32 v4, vcc, s2, v16
	v_addc_co_u32_e32 v5, vcc, v17, v20, vcc
	global_store_dwordx4 v[4:5], v[0:3], off
	global_load_dwordx4 v[0:3], v[14:15], off offset:3136
	s_waitcnt vmcnt(0) lgkmcnt(0)
	v_mul_f64 v[6:7], v[10:11], v[2:3]
	v_mul_f64 v[2:3], v[8:9], v[2:3]
	v_fma_f64 v[6:7], v[8:9], v[0:1], v[6:7]
	v_fma_f64 v[2:3], v[0:1], v[10:11], -v[2:3]
	v_mul_f64 v[0:1], v[6:7], s[4:5]
	v_mul_f64 v[2:3], v[2:3], s[4:5]
	v_add_co_u32_e32 v6, vcc, s0, v12
	v_addc_co_u32_e32 v7, vcc, 0, v13, vcc
	v_add_co_u32_e32 v14, vcc, s2, v4
	v_addc_co_u32_e32 v15, vcc, v5, v20, vcc
	global_store_dwordx4 v[14:15], v[0:3], off
	global_load_dwordx4 v[0:3], v[6:7], off offset:1600
	ds_read_b128 v[4:7], v120 offset:22080
	ds_read_b128 v[8:11], v120 offset:24640
	s_movk_i32 s0, 0x6000
	s_waitcnt vmcnt(0) lgkmcnt(1)
	v_mul_f64 v[16:17], v[6:7], v[2:3]
	v_mul_f64 v[2:3], v[4:5], v[2:3]
	v_fma_f64 v[4:5], v[4:5], v[0:1], v[16:17]
	v_fma_f64 v[2:3], v[0:1], v[6:7], -v[2:3]
	v_mul_f64 v[0:1], v[4:5], s[4:5]
	v_mul_f64 v[2:3], v[2:3], s[4:5]
	v_add_co_u32_e32 v4, vcc, s0, v12
	v_addc_co_u32_e32 v5, vcc, 0, v13, vcc
	v_add_co_u32_e32 v6, vcc, s2, v14
	v_addc_co_u32_e32 v7, vcc, v15, v20, vcc
	global_store_dwordx4 v[6:7], v[0:3], off
	global_load_dwordx4 v[0:3], v[4:5], off offset:64
	s_waitcnt vmcnt(0) lgkmcnt(0)
	v_mul_f64 v[4:5], v[10:11], v[2:3]
	v_mul_f64 v[2:3], v[8:9], v[2:3]
	v_fma_f64 v[4:5], v[8:9], v[0:1], v[4:5]
	v_fma_f64 v[2:3], v[0:1], v[10:11], -v[2:3]
	v_mul_f64 v[0:1], v[4:5], s[4:5]
	v_mul_f64 v[2:3], v[2:3], s[4:5]
	v_add_co_u32_e32 v4, vcc, s2, v6
	v_addc_co_u32_e32 v5, vcc, v7, v20, vcc
	global_store_dwordx4 v[4:5], v[0:3], off
.LBB0_23:
	s_endpgm
	.section	.rodata,"a",@progbits
	.p2align	6, 0x0
	.amdhsa_kernel bluestein_single_back_len1600_dim1_dp_op_CI_CI
		.amdhsa_group_segment_fixed_size 51200
		.amdhsa_private_segment_fixed_size 236
		.amdhsa_kernarg_size 104
		.amdhsa_user_sgpr_count 6
		.amdhsa_user_sgpr_private_segment_buffer 1
		.amdhsa_user_sgpr_dispatch_ptr 0
		.amdhsa_user_sgpr_queue_ptr 0
		.amdhsa_user_sgpr_kernarg_segment_ptr 1
		.amdhsa_user_sgpr_dispatch_id 0
		.amdhsa_user_sgpr_flat_scratch_init 0
		.amdhsa_user_sgpr_private_segment_size 0
		.amdhsa_uses_dynamic_stack 0
		.amdhsa_system_sgpr_private_segment_wavefront_offset 1
		.amdhsa_system_sgpr_workgroup_id_x 1
		.amdhsa_system_sgpr_workgroup_id_y 0
		.amdhsa_system_sgpr_workgroup_id_z 0
		.amdhsa_system_sgpr_workgroup_info 0
		.amdhsa_system_vgpr_workitem_id 0
		.amdhsa_next_free_vgpr 256
		.amdhsa_next_free_sgpr 28
		.amdhsa_reserve_vcc 1
		.amdhsa_reserve_flat_scratch 0
		.amdhsa_float_round_mode_32 0
		.amdhsa_float_round_mode_16_64 0
		.amdhsa_float_denorm_mode_32 3
		.amdhsa_float_denorm_mode_16_64 3
		.amdhsa_dx10_clamp 1
		.amdhsa_ieee_mode 1
		.amdhsa_fp16_overflow 0
		.amdhsa_exception_fp_ieee_invalid_op 0
		.amdhsa_exception_fp_denorm_src 0
		.amdhsa_exception_fp_ieee_div_zero 0
		.amdhsa_exception_fp_ieee_overflow 0
		.amdhsa_exception_fp_ieee_underflow 0
		.amdhsa_exception_fp_ieee_inexact 0
		.amdhsa_exception_int_div_zero 0
	.end_amdhsa_kernel
	.text
.Lfunc_end0:
	.size	bluestein_single_back_len1600_dim1_dp_op_CI_CI, .Lfunc_end0-bluestein_single_back_len1600_dim1_dp_op_CI_CI
                                        ; -- End function
	.section	.AMDGPU.csdata,"",@progbits
; Kernel info:
; codeLenInByte = 23424
; NumSgprs: 32
; NumVgprs: 256
; ScratchSize: 236
; MemoryBound: 0
; FloatMode: 240
; IeeeMode: 1
; LDSByteSize: 51200 bytes/workgroup (compile time only)
; SGPRBlocks: 3
; VGPRBlocks: 63
; NumSGPRsForWavesPerEU: 32
; NumVGPRsForWavesPerEU: 256
; Occupancy: 1
; WaveLimiterHint : 1
; COMPUTE_PGM_RSRC2:SCRATCH_EN: 1
; COMPUTE_PGM_RSRC2:USER_SGPR: 6
; COMPUTE_PGM_RSRC2:TRAP_HANDLER: 0
; COMPUTE_PGM_RSRC2:TGID_X_EN: 1
; COMPUTE_PGM_RSRC2:TGID_Y_EN: 0
; COMPUTE_PGM_RSRC2:TGID_Z_EN: 0
; COMPUTE_PGM_RSRC2:TIDIG_COMP_CNT: 0
	.type	__hip_cuid_bfd8b5158b41d0a3,@object ; @__hip_cuid_bfd8b5158b41d0a3
	.section	.bss,"aw",@nobits
	.globl	__hip_cuid_bfd8b5158b41d0a3
__hip_cuid_bfd8b5158b41d0a3:
	.byte	0                               ; 0x0
	.size	__hip_cuid_bfd8b5158b41d0a3, 1

	.ident	"AMD clang version 19.0.0git (https://github.com/RadeonOpenCompute/llvm-project roc-6.4.0 25133 c7fe45cf4b819c5991fe208aaa96edf142730f1d)"
	.section	".note.GNU-stack","",@progbits
	.addrsig
	.addrsig_sym __hip_cuid_bfd8b5158b41d0a3
	.amdgpu_metadata
---
amdhsa.kernels:
  - .args:
      - .actual_access:  read_only
        .address_space:  global
        .offset:         0
        .size:           8
        .value_kind:     global_buffer
      - .actual_access:  read_only
        .address_space:  global
        .offset:         8
        .size:           8
        .value_kind:     global_buffer
      - .actual_access:  read_only
        .address_space:  global
        .offset:         16
        .size:           8
        .value_kind:     global_buffer
      - .actual_access:  read_only
        .address_space:  global
        .offset:         24
        .size:           8
        .value_kind:     global_buffer
      - .actual_access:  read_only
        .address_space:  global
        .offset:         32
        .size:           8
        .value_kind:     global_buffer
      - .offset:         40
        .size:           8
        .value_kind:     by_value
      - .address_space:  global
        .offset:         48
        .size:           8
        .value_kind:     global_buffer
      - .address_space:  global
        .offset:         56
        .size:           8
        .value_kind:     global_buffer
      - .address_space:  global
        .offset:         64
        .size:           8
        .value_kind:     global_buffer
      - .address_space:  global
        .offset:         72
        .size:           8
        .value_kind:     global_buffer
      - .offset:         80
        .size:           4
        .value_kind:     by_value
      - .address_space:  global
        .offset:         88
        .size:           8
        .value_kind:     global_buffer
      - .address_space:  global
        .offset:         96
        .size:           8
        .value_kind:     global_buffer
    .group_segment_fixed_size: 51200
    .kernarg_segment_align: 8
    .kernarg_segment_size: 104
    .language:       OpenCL C
    .language_version:
      - 2
      - 0
    .max_flat_workgroup_size: 200
    .name:           bluestein_single_back_len1600_dim1_dp_op_CI_CI
    .private_segment_fixed_size: 236
    .sgpr_count:     32
    .sgpr_spill_count: 0
    .symbol:         bluestein_single_back_len1600_dim1_dp_op_CI_CI.kd
    .uniform_work_group_size: 1
    .uses_dynamic_stack: false
    .vgpr_count:     256
    .vgpr_spill_count: 58
    .wavefront_size: 64
amdhsa.target:   amdgcn-amd-amdhsa--gfx906
amdhsa.version:
  - 1
  - 2
...

	.end_amdgpu_metadata
